;; amdgpu-corpus repo=ROCm/rocFFT kind=compiled arch=gfx1030 opt=O3
	.text
	.amdgcn_target "amdgcn-amd-amdhsa--gfx1030"
	.amdhsa_code_object_version 6
	.protected	bluestein_single_fwd_len561_dim1_dp_op_CI_CI ; -- Begin function bluestein_single_fwd_len561_dim1_dp_op_CI_CI
	.globl	bluestein_single_fwd_len561_dim1_dp_op_CI_CI
	.p2align	8
	.type	bluestein_single_fwd_len561_dim1_dp_op_CI_CI,@function
bluestein_single_fwd_len561_dim1_dp_op_CI_CI: ; @bluestein_single_fwd_len561_dim1_dp_op_CI_CI
; %bb.0:
	s_mov_b64 s[62:63], s[2:3]
	s_mov_b64 s[60:61], s[0:1]
	s_load_dwordx4 s[0:3], s[4:5], 0x28
	v_mul_u32_u24_e32 v1, 0x506, v0
	s_add_u32 s60, s60, s7
	s_addc_u32 s61, s61, 0
	v_lshrrev_b32_e32 v1, 16, v1
	v_mad_u64_u32 v[3:4], null, s6, 5, v[1:2]
	v_mov_b32_e32 v4, 0
                                        ; kill: def $vgpr2 killed $sgpr0 killed $exec
	s_waitcnt lgkmcnt(0)
	v_cmp_gt_u64_e32 vcc_lo, s[0:1], v[3:4]
	s_and_saveexec_b32 s0, vcc_lo
	s_cbranch_execz .LBB0_23
; %bb.1:
	v_mul_hi_u32 v2, 0xcccccccd, v3
	v_mul_lo_u16 v1, v1, 51
	s_clause 0x1
	s_load_dwordx2 s[12:13], s[4:5], 0x0
	s_load_dwordx2 s[14:15], s[4:5], 0x38
	v_sub_nc_u16 v0, v0, v1
	v_mov_b32_e32 v1, v3
	v_lshrrev_b32_e32 v2, 2, v2
	v_cmp_gt_u16_e32 vcc_lo, 33, v0
	v_lshl_add_u32 v2, v2, 2, v2
	buffer_store_dword v1, off, s[60:63], 0 offset:8 ; 4-byte Folded Spill
	buffer_store_dword v2, off, s[60:63], 0 offset:12 ; 4-byte Folded Spill
	v_sub_nc_u32_e32 v1, v3, v2
	v_and_b32_e32 v2, 0xffff, v0
	v_mul_u32_u24_e32 v152, 0x231, v1
	buffer_store_dword v2, off, s[60:63], 0 ; 4-byte Folded Spill
	v_lshlrev_b32_e32 v0, 4, v152
	buffer_store_dword v0, off, s[60:63], 0 offset:4 ; 4-byte Folded Spill
	s_and_saveexec_b32 s1, vcc_lo
	s_cbranch_execz .LBB0_3
; %bb.2:
	buffer_load_dword v149, off, s[60:63], 0 ; 4-byte Folded Reload
	s_load_dwordx2 s[6:7], s[4:5], 0x18
	s_waitcnt lgkmcnt(0)
	s_load_dwordx4 s[8:11], s[6:7], 0x0
	s_waitcnt lgkmcnt(0)
	s_mul_i32 s6, s9, 0x210
	s_mul_hi_u32 s7, s8, 0x210
	s_add_i32 s7, s7, s6
	s_waitcnt vmcnt(0)
	v_lshlrev_b32_e32 v148, 4, v149
	v_mad_u64_u32 v[40:41], null, s8, v149, 0
	s_clause 0x2
	global_load_dwordx4 v[0:3], v148, s[12:13]
	global_load_dwordx4 v[4:7], v148, s[12:13] offset:528
	global_load_dwordx4 v[8:11], v148, s[12:13] offset:1056
	s_clause 0x1
	buffer_load_dword v12, off, s[60:63], 0 offset:8
	buffer_load_dword v13, off, s[60:63], 0 offset:12
	v_add_co_u32 v20, s0, s12, v148
	v_mov_b32_e32 v17, v41
	v_add_co_ci_u32_e64 v21, null, s13, 0, s0
	v_add_co_u32 v28, s0, 0x800, v20
	v_add_co_ci_u32_e64 v29, s0, 0, v21, s0
	v_add_co_u32 v44, s0, 0x1000, v20
	v_add_co_ci_u32_e64 v45, s0, 0, v21, s0
	;; [unrolled: 2-line block ×4, first 2 shown]
	s_waitcnt vmcnt(1)
	v_mov_b32_e32 v18, v12
	global_load_dwordx4 v[12:15], v148, s[12:13] offset:1584
	v_mad_u64_u32 v[32:33], null, s10, v18, 0
	v_mov_b32_e32 v16, v33
	v_mad_u64_u32 v[18:19], null, s11, v18, v[16:17]
	v_mad_u64_u32 v[34:35], null, s9, v149, v[17:18]
	v_mov_b32_e32 v33, v18
	s_clause 0x3
	global_load_dwordx4 v[16:19], v[28:29], off offset:64
	global_load_dwordx4 v[20:23], v[28:29], off offset:592
	global_load_dwordx4 v[24:27], v[28:29], off offset:1120
	global_load_dwordx4 v[28:31], v[28:29], off offset:1648
	v_lshlrev_b64 v[42:43], 4, v[32:33]
	v_mov_b32_e32 v41, v34
	s_clause 0x1
	global_load_dwordx4 v[32:35], v[44:45], off offset:128
	global_load_dwordx4 v[36:39], v[44:45], off offset:656
	v_add_co_u32 v42, s0, s2, v42
	v_lshlrev_b64 v[40:41], 4, v[40:41]
	v_add_co_ci_u32_e64 v43, s0, s3, v43, s0
	s_mul_i32 s2, s8, 0x210
	v_add_co_u32 v56, s0, v42, v40
	v_add_co_ci_u32_e64 v57, s0, v43, v41, s0
	s_clause 0x1
	global_load_dwordx4 v[40:43], v[44:45], off offset:1184
	global_load_dwordx4 v[44:47], v[44:45], off offset:1712
	v_add_co_u32 v60, s0, v56, s2
	v_add_co_ci_u32_e64 v61, s0, s7, v57, s0
	s_clause 0x1
	global_load_dwordx4 v[48:51], v[120:121], off offset:192
	global_load_dwordx4 v[52:55], v[120:121], off offset:720
	v_add_co_u32 v64, s0, v60, s2
	v_add_co_ci_u32_e64 v65, s0, s7, v61, s0
	s_clause 0x1
	global_load_dwordx4 v[56:59], v[56:57], off
	global_load_dwordx4 v[60:63], v[60:61], off
	v_add_co_u32 v68, s0, v64, s2
	v_add_co_ci_u32_e64 v69, s0, s7, v65, s0
	v_add_co_u32 v72, s0, v68, s2
	v_add_co_ci_u32_e64 v73, s0, s7, v69, s0
	s_clause 0x1
	global_load_dwordx4 v[64:67], v[64:65], off
	global_load_dwordx4 v[68:71], v[68:69], off
	v_add_co_u32 v76, s0, v72, s2
	v_add_co_ci_u32_e64 v77, s0, s7, v73, s0
	global_load_dwordx4 v[72:75], v[72:73], off
	v_add_co_u32 v80, s0, v76, s2
	v_add_co_ci_u32_e64 v81, s0, s7, v77, s0
	global_load_dwordx4 v[76:79], v[76:77], off
	v_add_co_u32 v84, s0, v80, s2
	v_add_co_ci_u32_e64 v85, s0, s7, v81, s0
	global_load_dwordx4 v[80:83], v[80:81], off
	v_add_co_u32 v88, s0, v84, s2
	v_add_co_ci_u32_e64 v89, s0, s7, v85, s0
	global_load_dwordx4 v[84:87], v[84:85], off
	v_add_co_u32 v92, s0, v88, s2
	v_add_co_ci_u32_e64 v93, s0, s7, v89, s0
	global_load_dwordx4 v[88:91], v[88:89], off
	v_add_co_u32 v96, s0, v92, s2
	v_add_co_ci_u32_e64 v97, s0, s7, v93, s0
	global_load_dwordx4 v[92:95], v[92:93], off
	v_add_co_u32 v100, s0, v96, s2
	v_add_co_ci_u32_e64 v101, s0, s7, v97, s0
	global_load_dwordx4 v[96:99], v[96:97], off
	v_add_co_u32 v104, s0, v100, s2
	v_add_co_ci_u32_e64 v105, s0, s7, v101, s0
	global_load_dwordx4 v[100:103], v[100:101], off
	v_add_co_u32 v108, s0, v104, s2
	v_add_co_ci_u32_e64 v109, s0, s7, v105, s0
	global_load_dwordx4 v[104:107], v[104:105], off
	v_add_co_u32 v112, s0, v108, s2
	v_add_co_ci_u32_e64 v113, s0, s7, v109, s0
	global_load_dwordx4 v[108:111], v[108:109], off
	v_add_co_u32 v124, s0, v112, s2
	v_add_co_ci_u32_e64 v125, s0, s7, v113, s0
	global_load_dwordx4 v[112:115], v[112:113], off
	v_add_co_u32 v132, s0, v124, s2
	v_add_co_ci_u32_e64 v133, s0, s7, v125, s0
	s_clause 0x1
	global_load_dwordx4 v[116:119], v[120:121], off offset:1248
	global_load_dwordx4 v[120:123], v[120:121], off offset:1776
	global_load_dwordx4 v[124:127], v[124:125], off
	global_load_dwordx4 v[128:131], v[128:129], off offset:256
	global_load_dwordx4 v[132:135], v[132:133], off
	s_waitcnt vmcnt(19)
	v_mul_f64 v[136:137], v[58:59], v[2:3]
	v_mul_f64 v[2:3], v[56:57], v[2:3]
	s_waitcnt vmcnt(18)
	v_mul_f64 v[138:139], v[62:63], v[6:7]
	v_mul_f64 v[6:7], v[60:61], v[6:7]
	;; [unrolled: 3-line block ×6, first 2 shown]
	v_fma_f64 v[56:57], v[56:57], v[0:1], v[136:137]
	v_fma_f64 v[58:59], v[58:59], v[0:1], -v[2:3]
	v_fma_f64 v[0:1], v[60:61], v[4:5], v[138:139]
	s_waitcnt vmcnt(13)
	v_mul_f64 v[60:61], v[82:83], v[26:27]
	v_mul_f64 v[26:27], v[80:81], v[26:27]
	v_fma_f64 v[2:3], v[62:63], v[4:5], -v[6:7]
	s_waitcnt vmcnt(12)
	v_mul_f64 v[62:63], v[86:87], v[30:31]
	v_mul_f64 v[30:31], v[84:85], v[30:31]
	v_fma_f64 v[4:5], v[64:65], v[8:9], v[140:141]
	v_fma_f64 v[6:7], v[66:67], v[8:9], -v[10:11]
	v_fma_f64 v[8:9], v[68:69], v[12:13], v[142:143]
	s_waitcnt vmcnt(11)
	v_mul_f64 v[64:65], v[90:91], v[34:35]
	v_mul_f64 v[34:35], v[88:89], v[34:35]
	v_fma_f64 v[10:11], v[70:71], v[12:13], -v[14:15]
	v_fma_f64 v[12:13], v[72:73], v[16:17], v[144:145]
	v_fma_f64 v[14:15], v[74:75], v[16:17], -v[18:19]
	s_waitcnt vmcnt(10)
	v_mul_f64 v[66:67], v[94:95], v[38:39]
	v_mul_f64 v[38:39], v[92:93], v[38:39]
	v_fma_f64 v[16:17], v[76:77], v[20:21], v[146:147]
	v_fma_f64 v[18:19], v[78:79], v[20:21], -v[22:23]
	s_waitcnt vmcnt(9)
	v_mul_f64 v[68:69], v[98:99], v[42:43]
	v_mul_f64 v[42:43], v[96:97], v[42:43]
	;; [unrolled: 5-line block ×6, first 2 shown]
	s_waitcnt vmcnt(2)
	v_mul_f64 v[118:119], v[126:127], v[122:123]
	v_mul_f64 v[122:123], v[124:125], v[122:123]
	s_waitcnt vmcnt(0)
	v_mul_f64 v[136:137], v[134:135], v[130:131]
	v_mul_f64 v[130:131], v[132:133], v[130:131]
	v_fma_f64 v[36:37], v[96:97], v[40:41], v[68:69]
	v_fma_f64 v[38:39], v[98:99], v[40:41], -v[42:43]
	v_fma_f64 v[40:41], v[100:101], v[44:45], v[70:71]
	v_fma_f64 v[42:43], v[102:103], v[44:45], -v[46:47]
	v_lshlrev_b32_e32 v69, 4, v152
	v_fma_f64 v[44:45], v[104:105], v[48:49], v[72:73]
	v_fma_f64 v[46:47], v[106:107], v[48:49], -v[50:51]
	v_lshl_add_u32 v68, v149, 4, v69
	v_fma_f64 v[48:49], v[108:109], v[52:53], v[74:75]
	v_fma_f64 v[50:51], v[110:111], v[52:53], -v[54:55]
	v_add_nc_u32_e32 v69, v69, v148
	v_fma_f64 v[52:53], v[112:113], v[116:117], v[76:77]
	v_fma_f64 v[54:55], v[114:115], v[116:117], -v[78:79]
	v_fma_f64 v[60:61], v[124:125], v[120:121], v[118:119]
	v_fma_f64 v[62:63], v[126:127], v[120:121], -v[122:123]
	;; [unrolled: 2-line block ×3, first 2 shown]
	ds_write_b128 v68, v[56:59]
	ds_write_b128 v69, v[0:3] offset:528
	ds_write_b128 v69, v[4:7] offset:1056
	;; [unrolled: 1-line block ×16, first 2 shown]
.LBB0_3:
	s_or_b32 exec_lo, exec_lo, s1
	s_waitcnt lgkmcnt(0)
	s_waitcnt_vscnt null, 0x0
	s_barrier
	buffer_gl0_inv
                                        ; implicit-def: $vgpr24_vgpr25
                                        ; implicit-def: $vgpr52_vgpr53
                                        ; implicit-def: $vgpr56_vgpr57
                                        ; implicit-def: $vgpr60_vgpr61
                                        ; implicit-def: $vgpr68_vgpr69
                                        ; implicit-def: $vgpr72_vgpr73
                                        ; implicit-def: $vgpr76_vgpr77
                                        ; implicit-def: $vgpr80_vgpr81
                                        ; implicit-def: $vgpr84_vgpr85
                                        ; implicit-def: $vgpr88_vgpr89
                                        ; implicit-def: $vgpr92_vgpr93
                                        ; implicit-def: $vgpr96_vgpr97
                                        ; implicit-def: $vgpr64_vgpr65
                                        ; implicit-def: $vgpr36_vgpr37
                                        ; implicit-def: $vgpr32_vgpr33
                                        ; implicit-def: $vgpr28_vgpr29
                                        ; implicit-def: $vgpr20_vgpr21
	s_and_saveexec_b32 s0, vcc_lo
	s_cbranch_execz .LBB0_5
; %bb.4:
	buffer_load_dword v0, off, s[60:63], 0  ; 4-byte Folded Reload
	s_waitcnt vmcnt(0)
	v_lshlrev_b32_e32 v0, 4, v0
	v_lshl_add_u32 v0, v152, 4, v0
	ds_read_b128 v[24:27], v0
	ds_read_b128 v[52:55], v0 offset:528
	ds_read_b128 v[56:59], v0 offset:1056
	ds_read_b128 v[60:63], v0 offset:1584
	ds_read_b128 v[68:71], v0 offset:2112
	ds_read_b128 v[72:75], v0 offset:2640
	ds_read_b128 v[76:79], v0 offset:3168
	ds_read_b128 v[80:83], v0 offset:3696
	ds_read_b128 v[84:87], v0 offset:4224
	ds_read_b128 v[88:91], v0 offset:4752
	ds_read_b128 v[92:95], v0 offset:5280
	ds_read_b128 v[96:99], v0 offset:5808
	ds_read_b128 v[64:67], v0 offset:6336
	ds_read_b128 v[36:39], v0 offset:6864
	ds_read_b128 v[32:35], v0 offset:7392
	ds_read_b128 v[28:31], v0 offset:7920
	ds_read_b128 v[20:23], v0 offset:8448
.LBB0_5:
	s_or_b32 exec_lo, exec_lo, s0
	s_waitcnt lgkmcnt(0)
	v_add_f64 v[42:43], v[54:55], -v[22:23]
	v_add_f64 v[40:41], v[52:53], -v[20:21]
	s_mov_b32 s2, 0x5d8e7cdc
	s_mov_b32 s3, 0xbfd71e95
	v_add_f64 v[225:226], v[58:59], -v[30:31]
	v_add_f64 v[112:113], v[56:57], -v[28:29]
	s_mov_b32 s10, 0x2a9d6da3
	s_mov_b32 s11, 0xbfe58eea
	;; [unrolled: 4-line block ×3, first 2 shown]
	v_add_f64 v[106:107], v[52:53], v[20:21]
	v_add_f64 v[108:109], v[54:55], v[22:23]
	s_mov_b32 s0, 0x370991
	s_mov_b32 s1, 0x3fedd6d0
	v_add_f64 v[100:101], v[56:57], v[28:29]
	v_add_f64 v[102:103], v[58:59], v[30:31]
	s_mov_b32 s6, 0x75d4884
	s_mov_b32 s7, 0x3fe7a5f6
	v_add_f64 v[114:115], v[62:63], v[34:35]
	s_mov_b32 s8, 0x2b2883cd
	v_mul_f64 v[0:1], v[42:43], s[2:3]
	v_mul_f64 v[2:3], v[40:41], s[2:3]
	s_mov_b32 s9, 0x3fdc86fa
	v_add_f64 v[235:236], v[70:71], -v[38:39]
	v_mul_f64 v[4:5], v[225:226], s[10:11]
	v_mul_f64 v[6:7], v[112:113], s[10:11]
	v_add_f64 v[239:240], v[68:69], -v[36:37]
	s_mov_b32 s28, 0xeb564b22
	v_mul_f64 v[8:9], v[229:230], s[26:27]
	v_mul_f64 v[10:11], v[233:234], s[26:27]
	s_mov_b32 s29, 0xbfefdd0d
	v_add_f64 v[128:129], v[70:71], v[38:39]
	s_mov_b32 s16, 0x3259b75e
	s_mov_b32 s17, 0x3fb79ee6
	v_add_f64 v[243:244], v[74:75], -v[66:67]
	s_mov_b32 s30, 0x923c349f
	s_mov_b32 s31, 0xbfeec746
	v_add_f64 v[110:111], v[60:61], v[32:33]
	v_add_f64 v[120:121], v[68:69], v[36:37]
	;; [unrolled: 1-line block ×3, first 2 shown]
	s_mov_b32 s18, 0xc61f0d01
	s_mov_b32 s19, 0xbfd183b1
	buffer_store_dword v0, off, s[60:63], 0 offset:76 ; 4-byte Folded Spill
	buffer_store_dword v1, off, s[60:63], 0 offset:80 ; 4-byte Folded Spill
	;; [unrolled: 1-line block ×12, first 2 shown]
	v_mul_f64 v[12:13], v[235:236], s[28:29]
	buffer_store_dword v12, off, s[60:63], 0 offset:68 ; 4-byte Folded Spill
	buffer_store_dword v13, off, s[60:63], 0 offset:72 ; 4-byte Folded Spill
	v_add_f64 v[245:246], v[72:73], -v[64:65]
	v_add_f64 v[155:156], v[74:75], v[66:67]
	v_add_f64 v[247:248], v[78:79], -v[98:99]
	s_mov_b32 s34, 0x6c9a05f6
	s_mov_b32 s35, 0xbfe9895b
	v_add_f64 v[138:139], v[76:77], v[96:97]
	s_mov_b32 s20, 0x6ed5f1bb
	s_mov_b32 s21, 0xbfe348c8
	v_add_f64 v[249:250], v[76:77], -v[96:97]
	v_add_f64 v[146:147], v[78:79], v[98:99]
	v_add_f64 v[253:254], v[82:83], -v[94:95]
	s_mov_b32 s36, 0x4363dd80
	s_mov_b32 s37, 0xbfe0d888
	v_add_f64 v[142:143], v[80:81], v[92:93]
	s_mov_b32 s22, 0x910ea3b9
	s_mov_b32 s23, 0xbfeb34fa
	;; [unrolled: 8-line block ×3, first 2 shown]
	v_add_f64 v[132:133], v[84:85], -v[88:89]
	v_add_f64 v[163:164], v[86:87], v[90:91]
	s_mov_b32 s49, 0x3fe0d888
	s_mov_b32 s48, s36
	;; [unrolled: 1-line block ×10, first 2 shown]
	v_mul_f64 v[153:154], v[42:43], s[26:27]
	v_mul_f64 v[157:158], v[40:41], s[26:27]
	;; [unrolled: 1-line block ×4, first 2 shown]
	s_mov_b32 s51, 0x3fe9895b
	s_mov_b32 s50, s34
	v_mul_f64 v[223:224], v[42:43], s[30:31]
	v_mul_f64 v[227:228], v[40:41], s[30:31]
	;; [unrolled: 1-line block ×28, first 2 shown]
	v_fma_f64 v[46:47], v[100:101], s[18:19], v[161:162]
	v_mul_f64 v[213:214], v[245:246], s[2:3]
	v_fma_f64 v[48:49], v[102:103], s[18:19], -v[169:170]
	v_mul_f64 v[207:208], v[247:248], s[38:39]
	v_mul_f64 v[217:218], v[249:250], s[38:39]
	;; [unrolled: 1-line block ×6, first 2 shown]
	v_fma_f64 v[50:51], v[100:101], s[8:9], v[191:192]
	v_fma_f64 v[122:123], v[102:103], s[8:9], -v[199:200]
	v_fma_f64 v[0:1], v[106:107], s[0:1], v[0:1]
	v_fma_f64 v[2:3], v[108:109], s[0:1], -v[2:3]
	;; [unrolled: 2-line block ×3, first 2 shown]
	v_fma_f64 v[8:9], v[110:111], s[8:9], v[8:9]
	v_add_f64 v[0:1], v[24:25], v[0:1]
	v_add_f64 v[2:3], v[26:27], v[2:3]
	;; [unrolled: 1-line block ×3, first 2 shown]
	v_fma_f64 v[4:5], v[114:115], s[8:9], -v[10:11]
	v_add_f64 v[2:3], v[6:7], v[2:3]
	v_fma_f64 v[6:7], v[120:121], s[16:17], v[12:13]
	v_add_f64 v[0:1], v[8:9], v[0:1]
	v_add_f64 v[2:3], v[4:5], v[2:3]
	v_mul_f64 v[4:5], v[239:240], s[28:29]
	buffer_store_dword v4, off, s[60:63], 0 offset:100 ; 4-byte Folded Spill
	buffer_store_dword v5, off, s[60:63], 0 offset:104 ; 4-byte Folded Spill
	v_add_f64 v[0:1], v[6:7], v[0:1]
	v_fma_f64 v[4:5], v[128:129], s[16:17], -v[4:5]
	v_add_f64 v[2:3], v[4:5], v[2:3]
	v_mul_f64 v[4:5], v[243:244], s[30:31]
	buffer_store_dword v4, off, s[60:63], 0 offset:108 ; 4-byte Folded Spill
	buffer_store_dword v5, off, s[60:63], 0 offset:112 ; 4-byte Folded Spill
	v_fma_f64 v[4:5], v[134:135], s[18:19], v[4:5]
	v_add_f64 v[0:1], v[4:5], v[0:1]
	v_mul_f64 v[4:5], v[245:246], s[30:31]
	buffer_store_dword v4, off, s[60:63], 0 offset:148 ; 4-byte Folded Spill
	buffer_store_dword v5, off, s[60:63], 0 offset:152 ; 4-byte Folded Spill
	v_fma_f64 v[4:5], v[155:156], s[18:19], -v[4:5]
	v_add_f64 v[2:3], v[4:5], v[2:3]
	v_mul_f64 v[4:5], v[247:248], s[34:35]
	buffer_store_dword v4, off, s[60:63], 0 offset:116 ; 4-byte Folded Spill
	buffer_store_dword v5, off, s[60:63], 0 offset:120 ; 4-byte Folded Spill
	v_fma_f64 v[4:5], v[138:139], s[20:21], v[4:5]
	v_add_f64 v[0:1], v[4:5], v[0:1]
	v_mul_f64 v[4:5], v[249:250], s[34:35]
	buffer_store_dword v4, off, s[60:63], 0 offset:132 ; 4-byte Folded Spill
	buffer_store_dword v5, off, s[60:63], 0 offset:136 ; 4-byte Folded Spill
	;; [unrolled: 10-line block ×4, first 2 shown]
	v_fma_f64 v[4:5], v[163:164], s[24:25], -v[4:5]
	v_add_f64 v[2:3], v[4:5], v[2:3]
	buffer_store_dword v0, off, s[60:63], 0 offset:16 ; 4-byte Folded Spill
	buffer_store_dword v1, off, s[60:63], 0 offset:20 ; 4-byte Folded Spill
	;; [unrolled: 1-line block ×4, first 2 shown]
	v_mul_f64 v[0:1], v[42:43], s[10:11]
	v_mul_f64 v[2:3], v[253:254], s[40:41]
	buffer_store_dword v0, off, s[60:63], 0 offset:476 ; 4-byte Folded Spill
	buffer_store_dword v1, off, s[60:63], 0 offset:480 ; 4-byte Folded Spill
	v_fma_f64 v[4:5], v[106:107], s[6:7], v[0:1]
	v_mul_f64 v[0:1], v[225:226], s[28:29]
	buffer_store_dword v0, off, s[60:63], 0 offset:228 ; 4-byte Folded Spill
	buffer_store_dword v1, off, s[60:63], 0 offset:232 ; 4-byte Folded Spill
	v_add_f64 v[4:5], v[24:25], v[4:5]
	v_fma_f64 v[6:7], v[100:101], s[16:17], v[0:1]
	v_mul_f64 v[0:1], v[40:41], s[10:11]
	buffer_store_dword v0, off, s[60:63], 0 offset:484 ; 4-byte Folded Spill
	buffer_store_dword v1, off, s[60:63], 0 offset:488 ; 4-byte Folded Spill
	v_add_f64 v[4:5], v[6:7], v[4:5]
	v_fma_f64 v[6:7], v[108:109], s[6:7], -v[0:1]
	v_mul_f64 v[0:1], v[112:113], s[28:29]
	buffer_store_dword v0, off, s[60:63], 0 offset:268 ; 4-byte Folded Spill
	buffer_store_dword v1, off, s[60:63], 0 offset:272 ; 4-byte Folded Spill
	v_add_f64 v[6:7], v[26:27], v[6:7]
	v_fma_f64 v[8:9], v[102:103], s[16:17], -v[0:1]
	v_mul_f64 v[0:1], v[229:230], s[34:35]
	buffer_store_dword v0, off, s[60:63], 0 offset:236 ; 4-byte Folded Spill
	buffer_store_dword v1, off, s[60:63], 0 offset:240 ; 4-byte Folded Spill
	v_add_f64 v[6:7], v[8:9], v[6:7]
	v_fma_f64 v[8:9], v[110:111], s[20:21], v[0:1]
	v_mul_f64 v[0:1], v[233:234], s[34:35]
	buffer_store_dword v0, off, s[60:63], 0 offset:260 ; 4-byte Folded Spill
	buffer_store_dword v1, off, s[60:63], 0 offset:264 ; 4-byte Folded Spill
	v_add_f64 v[4:5], v[8:9], v[4:5]
	v_fma_f64 v[8:9], v[114:115], s[20:21], -v[0:1]
	v_mul_f64 v[0:1], v[235:236], s[38:39]
	buffer_store_dword v0, off, s[60:63], 0 offset:220 ; 4-byte Folded Spill
	buffer_store_dword v1, off, s[60:63], 0 offset:224 ; 4-byte Folded Spill
	v_add_f64 v[6:7], v[8:9], v[6:7]
	v_fma_f64 v[8:9], v[120:121], s[24:25], v[0:1]
	;; [unrolled: 10-line block ×5, first 2 shown]
	v_add_f64 v[4:5], v[8:9], v[4:5]
	v_fma_f64 v[8:9], v[159:160], s[8:9], -v[0:1]
	v_mul_f64 v[0:1], v[130:131], s[42:43]
	buffer_store_dword v0, off, s[60:63], 0 offset:188 ; 4-byte Folded Spill
	buffer_store_dword v1, off, s[60:63], 0 offset:192 ; 4-byte Folded Spill
	v_add_f64 v[6:7], v[8:9], v[6:7]
	v_fma_f64 v[8:9], v[150:151], s[0:1], v[0:1]
	v_mul_f64 v[0:1], v[132:133], s[42:43]
	buffer_store_dword v0, off, s[60:63], 0 offset:196 ; 4-byte Folded Spill
	buffer_store_dword v1, off, s[60:63], 0 offset:200 ; 4-byte Folded Spill
	v_add_f64 v[4:5], v[8:9], v[4:5]
	v_fma_f64 v[8:9], v[163:164], s[0:1], -v[0:1]
	v_mul_f64 v[0:1], v[225:226], s[34:35]
	buffer_store_dword v0, off, s[60:63], 0 offset:356 ; 4-byte Folded Spill
	buffer_store_dword v1, off, s[60:63], 0 offset:360 ; 4-byte Folded Spill
	v_add_f64 v[6:7], v[8:9], v[6:7]
	v_fma_f64 v[8:9], v[106:107], s[8:9], v[153:154]
	v_add_f64 v[8:9], v[24:25], v[8:9]
	v_fma_f64 v[10:11], v[100:101], s[20:21], v[0:1]
	v_mul_f64 v[0:1], v[112:113], s[34:35]
	buffer_store_dword v0, off, s[60:63], 0 offset:372 ; 4-byte Folded Spill
	buffer_store_dword v1, off, s[60:63], 0 offset:376 ; 4-byte Folded Spill
	v_add_f64 v[8:9], v[10:11], v[8:9]
	v_fma_f64 v[10:11], v[108:109], s[8:9], -v[157:158]
	v_add_f64 v[10:11], v[26:27], v[10:11]
	v_fma_f64 v[12:13], v[102:103], s[20:21], -v[0:1]
	v_mul_f64 v[0:1], v[229:230], s[46:47]
	buffer_store_dword v0, off, s[60:63], 0 offset:364 ; 4-byte Folded Spill
	buffer_store_dword v1, off, s[60:63], 0 offset:368 ; 4-byte Folded Spill
	v_add_f64 v[10:11], v[12:13], v[10:11]
	v_fma_f64 v[12:13], v[110:111], s[24:25], v[0:1]
	v_mul_f64 v[0:1], v[233:234], s[46:47]
	buffer_store_dword v0, off, s[60:63], 0 offset:388 ; 4-byte Folded Spill
	buffer_store_dword v1, off, s[60:63], 0 offset:392 ; 4-byte Folded Spill
	v_add_f64 v[8:9], v[12:13], v[8:9]
	s_mov_b32 s47, 0x3fe58eea
	s_mov_b32 s46, s10
	v_mul_f64 v[136:137], v[233:234], s[46:47]
	v_mul_f64 v[211:212], v[253:254], s[46:47]
	v_mul_f64 v[219:220], v[126:127], s[46:47]
	v_mul_f64 v[241:242], v[239:240], s[46:47]
	v_fma_f64 v[12:13], v[114:115], s[24:25], -v[0:1]
	v_mul_f64 v[0:1], v[235:236], s[44:45]
	buffer_store_dword v0, off, s[60:63], 0 offset:348 ; 4-byte Folded Spill
	buffer_store_dword v1, off, s[60:63], 0 offset:352 ; 4-byte Folded Spill
	v_add_f64 v[10:11], v[12:13], v[10:11]
	v_fma_f64 v[12:13], v[120:121], s[18:19], v[0:1]
	v_mul_f64 v[0:1], v[239:240], s[44:45]
	buffer_store_dword v0, off, s[60:63], 0 offset:404 ; 4-byte Folded Spill
	buffer_store_dword v1, off, s[60:63], 0 offset:408 ; 4-byte Folded Spill
	v_add_f64 v[8:9], v[12:13], v[8:9]
	v_fma_f64 v[12:13], v[128:129], s[18:19], -v[0:1]
	v_mul_f64 v[0:1], v[243:244], s[46:47]
	buffer_store_dword v0, off, s[60:63], 0 offset:332 ; 4-byte Folded Spill
	buffer_store_dword v1, off, s[60:63], 0 offset:336 ; 4-byte Folded Spill
	v_add_f64 v[10:11], v[12:13], v[10:11]
	v_fma_f64 v[12:13], v[134:135], s[6:7], v[0:1]
	v_mul_f64 v[0:1], v[245:246], s[46:47]
	buffer_store_dword v0, off, s[60:63], 0 offset:420 ; 4-byte Folded Spill
	buffer_store_dword v1, off, s[60:63], 0 offset:424 ; 4-byte Folded Spill
	v_add_f64 v[8:9], v[12:13], v[8:9]
	;; [unrolled: 10-line block ×5, first 2 shown]
	v_fma_f64 v[12:13], v[163:164], s[22:23], -v[0:1]
	v_mul_f64 v[0:1], v[225:226], s[38:39]
	buffer_store_dword v0, off, s[60:63], 0 offset:500 ; 4-byte Folded Spill
	buffer_store_dword v1, off, s[60:63], 0 offset:504 ; 4-byte Folded Spill
	v_add_f64 v[10:11], v[12:13], v[10:11]
	v_fma_f64 v[12:13], v[106:107], s[16:17], v[195:196]
	v_add_f64 v[12:13], v[24:25], v[12:13]
	v_fma_f64 v[14:15], v[100:101], s[24:25], v[0:1]
	v_mul_f64 v[0:1], v[112:113], s[38:39]
	buffer_store_dword v0, off, s[60:63], 0 offset:516 ; 4-byte Folded Spill
	buffer_store_dword v1, off, s[60:63], 0 offset:520 ; 4-byte Folded Spill
	v_add_f64 v[12:13], v[14:15], v[12:13]
	v_fma_f64 v[14:15], v[108:109], s[16:17], -v[201:202]
	v_add_f64 v[14:15], v[26:27], v[14:15]
	v_fma_f64 v[16:17], v[102:103], s[24:25], -v[0:1]
	v_mul_f64 v[0:1], v[229:230], s[44:45]
	buffer_store_dword v0, off, s[60:63], 0 offset:508 ; 4-byte Folded Spill
	buffer_store_dword v1, off, s[60:63], 0 offset:512 ; 4-byte Folded Spill
	v_add_f64 v[14:15], v[16:17], v[14:15]
	v_fma_f64 v[16:17], v[110:111], s[18:19], v[0:1]
	v_mul_f64 v[0:1], v[233:234], s[44:45]
	buffer_store_dword v0, off, s[60:63], 0 offset:532 ; 4-byte Folded Spill
	buffer_store_dword v1, off, s[60:63], 0 offset:536 ; 4-byte Folded Spill
	v_add_f64 v[12:13], v[16:17], v[12:13]
	v_mul_f64 v[233:234], v[235:236], s[46:47]
	v_fma_f64 v[16:17], v[114:115], s[18:19], -v[0:1]
	v_mul_f64 v[0:1], v[235:236], s[42:43]
	buffer_store_dword v0, off, s[60:63], 0 offset:524 ; 4-byte Folded Spill
	buffer_store_dword v1, off, s[60:63], 0 offset:528 ; 4-byte Folded Spill
	v_add_f64 v[14:15], v[16:17], v[14:15]
	v_fma_f64 v[16:17], v[120:121], s[0:1], v[0:1]
	v_mul_f64 v[0:1], v[239:240], s[42:43]
	buffer_store_dword v0, off, s[60:63], 0 offset:548 ; 4-byte Folded Spill
	buffer_store_dword v1, off, s[60:63], 0 offset:552 ; 4-byte Folded Spill
	v_add_f64 v[12:13], v[16:17], v[12:13]
	v_mul_f64 v[239:240], v[247:248], s[40:41]
	v_fma_f64 v[16:17], v[128:129], s[0:1], -v[0:1]
	v_mul_f64 v[0:1], v[243:244], s[26:27]
	buffer_store_dword v0, off, s[60:63], 0 offset:540 ; 4-byte Folded Spill
	buffer_store_dword v1, off, s[60:63], 0 offset:544 ; 4-byte Folded Spill
	v_add_f64 v[14:15], v[16:17], v[14:15]
	v_fma_f64 v[16:17], v[134:135], s[8:9], v[0:1]
	v_mul_f64 v[0:1], v[245:246], s[26:27]
	buffer_store_dword v0, off, s[60:63], 0 offset:556 ; 4-byte Folded Spill
	buffer_store_dword v1, off, s[60:63], 0 offset:560 ; 4-byte Folded Spill
	v_add_f64 v[12:13], v[16:17], v[12:13]
	v_fma_f64 v[16:17], v[155:156], s[8:9], -v[0:1]
	v_mul_f64 v[0:1], v[247:248], s[36:37]
	buffer_store_dword v0, off, s[60:63], 0 offset:412 ; 4-byte Folded Spill
	buffer_store_dword v1, off, s[60:63], 0 offset:416 ; 4-byte Folded Spill
	v_add_f64 v[14:15], v[16:17], v[14:15]
	v_fma_f64 v[16:17], v[138:139], s[22:23], v[0:1]
	v_mul_f64 v[0:1], v[249:250], s[36:37]
	buffer_store_dword v0, off, s[60:63], 0 offset:428 ; 4-byte Folded Spill
	buffer_store_dword v1, off, s[60:63], 0 offset:432 ; 4-byte Folded Spill
	v_add_f64 v[12:13], v[16:17], v[12:13]
	;; [unrolled: 10-line block ×4, first 2 shown]
	v_fma_f64 v[16:17], v[163:164], s[6:7], -v[0:1]
	v_mul_f64 v[0:1], v[225:226], s[48:49]
	buffer_store_dword v0, off, s[60:63], 0 offset:564 ; 4-byte Folded Spill
	buffer_store_dword v1, off, s[60:63], 0 offset:568 ; 4-byte Folded Spill
	v_add_f64 v[14:15], v[16:17], v[14:15]
	v_fma_f64 v[16:17], v[106:107], s[18:19], v[223:224]
	v_mul_f64 v[225:226], v[225:226], s[42:43]
	v_add_f64 v[16:17], v[24:25], v[16:17]
	v_fma_f64 v[124:125], v[100:101], s[0:1], v[225:226]
	v_fma_f64 v[18:19], v[100:101], s[22:23], v[0:1]
	v_mul_f64 v[0:1], v[112:113], s[48:49]
	buffer_store_dword v0, off, s[60:63], 0 offset:580 ; 4-byte Folded Spill
	buffer_store_dword v1, off, s[60:63], 0 offset:584 ; 4-byte Folded Spill
	v_add_f64 v[16:17], v[18:19], v[16:17]
	v_fma_f64 v[18:19], v[108:109], s[18:19], -v[227:228]
	v_fma_f64 v[112:113], v[102:103], s[0:1], -v[231:232]
	v_add_f64 v[18:19], v[26:27], v[18:19]
	v_fma_f64 v[44:45], v[102:103], s[22:23], -v[0:1]
	v_mul_f64 v[0:1], v[229:230], s[46:47]
	buffer_store_dword v0, off, s[60:63], 0 offset:572 ; 4-byte Folded Spill
	buffer_store_dword v1, off, s[60:63], 0 offset:576 ; 4-byte Folded Spill
	v_add_f64 v[18:19], v[44:45], v[18:19]
	v_mul_f64 v[229:230], v[229:230], s[36:37]
	v_fma_f64 v[44:45], v[110:111], s[6:7], v[0:1]
	v_mul_f64 v[0:1], v[235:236], s[26:27]
	buffer_store_dword v0, off, s[60:63], 0 offset:588 ; 4-byte Folded Spill
	buffer_store_dword v1, off, s[60:63], 0 offset:592 ; 4-byte Folded Spill
	v_add_f64 v[16:17], v[44:45], v[16:17]
	v_fma_f64 v[44:45], v[114:115], s[6:7], -v[136:137]
	s_mov_b32 s27, 0x3fefdd0d
	s_mov_b32 s26, s28
	v_mul_f64 v[235:236], v[243:244], s[34:35]
	v_mul_f64 v[171:172], v[243:244], s[26:27]
	;; [unrolled: 1-line block ×5, first 2 shown]
	v_add_f64 v[18:19], v[44:45], v[18:19]
	v_fma_f64 v[44:45], v[120:121], s[8:9], v[0:1]
	v_mul_f64 v[0:1], v[247:248], s[26:27]
	buffer_store_dword v0, off, s[60:63], 0 offset:468 ; 4-byte Folded Spill
	buffer_store_dword v1, off, s[60:63], 0 offset:472 ; 4-byte Folded Spill
	v_add_f64 v[16:17], v[44:45], v[16:17]
	v_fma_f64 v[44:45], v[128:129], s[8:9], -v[144:145]
	v_mul_f64 v[247:248], v[130:131], s[26:27]
	v_add_f64 v[18:19], v[44:45], v[18:19]
	v_fma_f64 v[44:45], v[134:135], s[24:25], v[140:141]
	v_add_f64 v[16:17], v[44:45], v[16:17]
	v_fma_f64 v[44:45], v[155:156], s[24:25], -v[148:149]
	v_add_f64 v[18:19], v[44:45], v[18:19]
	v_fma_f64 v[44:45], v[138:139], s[16:17], v[0:1]
	v_mul_f64 v[0:1], v[249:250], s[26:27]
	buffer_store_dword v0, off, s[60:63], 0 offset:492 ; 4-byte Folded Spill
	buffer_store_dword v1, off, s[60:63], 0 offset:496 ; 4-byte Folded Spill
	v_add_f64 v[16:17], v[44:45], v[16:17]
	v_mul_f64 v[249:250], v[249:250], s[40:41]
	v_fma_f64 v[44:45], v[146:147], s[16:17], -v[0:1]
	v_mul_f64 v[0:1], v[253:254], s[2:3]
	buffer_store_dword v0, off, s[60:63], 0 offset:452 ; 4-byte Folded Spill
	buffer_store_dword v1, off, s[60:63], 0 offset:456 ; 4-byte Folded Spill
	v_add_f64 v[18:19], v[44:45], v[18:19]
	v_mul_f64 v[253:254], v[126:127], s[30:31]
	v_fma_f64 v[44:45], v[142:143], s[0:1], v[0:1]
	v_mul_f64 v[0:1], v[126:127], s[2:3]
	buffer_store_dword v0, off, s[60:63], 0 offset:460 ; 4-byte Folded Spill
	buffer_store_dword v1, off, s[60:63], 0 offset:464 ; 4-byte Folded Spill
	v_add_f64 v[16:17], v[44:45], v[16:17]
	v_fma_f64 v[44:45], v[159:160], s[0:1], -v[0:1]
	v_mul_f64 v[0:1], v[130:131], s[34:35]
	buffer_store_dword v0, off, s[60:63], 0 offset:436 ; 4-byte Folded Spill
	buffer_store_dword v1, off, s[60:63], 0 offset:440 ; 4-byte Folded Spill
	v_add_f64 v[18:19], v[44:45], v[18:19]
	v_fma_f64 v[44:45], v[150:151], s[20:21], v[0:1]
	v_mul_f64 v[0:1], v[132:133], s[34:35]
	buffer_store_dword v0, off, s[60:63], 0 offset:444 ; 4-byte Folded Spill
	buffer_store_dword v1, off, s[60:63], 0 offset:448 ; 4-byte Folded Spill
	v_add_f64 v[16:17], v[44:45], v[16:17]
	s_clause 0x1
	s_load_dwordx2 s[10:11], s[4:5], 0x20
	s_load_dwordx2 s[2:3], s[4:5], 0x8
	s_waitcnt lgkmcnt(0)
	s_waitcnt_vscnt null, 0x0
	s_barrier
	buffer_gl0_inv
	v_fma_f64 v[44:45], v[163:164], s[20:21], -v[0:1]
	buffer_load_dword v0, off, s[60:63], 0  ; 4-byte Folded Reload
	v_add_f64 v[18:19], v[44:45], v[18:19]
	v_fma_f64 v[44:45], v[106:107], s[20:21], v[251:252]
	v_add_f64 v[44:45], v[24:25], v[44:45]
	v_add_f64 v[44:45], v[46:47], v[44:45]
	v_fma_f64 v[46:47], v[108:109], s[20:21], -v[104:105]
	v_add_f64 v[46:47], v[26:27], v[46:47]
	v_add_f64 v[46:47], v[48:49], v[46:47]
	v_fma_f64 v[48:49], v[110:111], s[0:1], v[165:166]
	v_add_f64 v[44:45], v[48:49], v[44:45]
	v_fma_f64 v[48:49], v[114:115], s[0:1], -v[173:174]
	v_add_f64 v[46:47], v[48:49], v[46:47]
	v_fma_f64 v[48:49], v[120:121], s[22:23], v[167:168]
	v_add_f64 v[44:45], v[48:49], v[44:45]
	v_fma_f64 v[48:49], v[128:129], s[22:23], -v[177:178]
	;; [unrolled: 4-line block ×5, first 2 shown]
	s_waitcnt vmcnt(0)
	v_mul_lo_u16 v0, v0, 17
	buffer_store_dword v0, off, s[60:63], 0 offset:32 ; 4-byte Folded Spill
	v_add_f64 v[46:47], v[48:49], v[46:47]
	v_fma_f64 v[48:49], v[150:151], s[8:9], v[183:184]
	v_add_f64 v[44:45], v[48:49], v[44:45]
	v_fma_f64 v[48:49], v[163:164], s[8:9], -v[189:190]
	v_add_f64 v[46:47], v[48:49], v[46:47]
	v_fma_f64 v[48:49], v[106:107], s[22:23], v[116:117]
	v_add_f64 v[48:49], v[24:25], v[48:49]
	v_add_f64 v[48:49], v[50:51], v[48:49]
	v_fma_f64 v[50:51], v[108:109], s[22:23], -v[118:119]
	v_add_f64 v[50:51], v[26:27], v[50:51]
	v_add_f64 v[50:51], v[122:123], v[50:51]
	v_fma_f64 v[122:123], v[110:111], s[16:17], v[193:194]
	v_add_f64 v[48:49], v[122:123], v[48:49]
	v_fma_f64 v[122:123], v[114:115], s[16:17], -v[205:206]
	v_add_f64 v[50:51], v[122:123], v[50:51]
	v_fma_f64 v[122:123], v[120:121], s[20:21], v[197:198]
	v_add_f64 v[48:49], v[122:123], v[48:49]
	v_fma_f64 v[122:123], v[128:129], s[20:21], -v[209:210]
	;; [unrolled: 4-line block ×6, first 2 shown]
	v_add_f64 v[50:51], v[122:123], v[50:51]
	v_mul_f64 v[122:123], v[42:43], s[38:39]
	v_fma_f64 v[42:43], v[106:107], s[24:25], v[122:123]
	v_add_f64 v[42:43], v[24:25], v[42:43]
	v_add_f64 v[42:43], v[124:125], v[42:43]
	v_mul_f64 v[124:125], v[40:41], s[38:39]
	v_fma_f64 v[40:41], v[108:109], s[24:25], -v[124:125]
	v_add_f64 v[40:41], v[26:27], v[40:41]
	v_add_f64 v[40:41], v[112:113], v[40:41]
	v_fma_f64 v[112:113], v[110:111], s[22:23], v[229:230]
	v_add_f64 v[42:43], v[112:113], v[42:43]
	v_fma_f64 v[112:113], v[114:115], s[22:23], -v[237:238]
	v_add_f64 v[40:41], v[112:113], v[40:41]
	v_fma_f64 v[112:113], v[120:121], s[6:7], v[233:234]
	v_add_f64 v[42:43], v[112:113], v[42:43]
	v_fma_f64 v[112:113], v[128:129], s[6:7], -v[241:242]
	;; [unrolled: 4-line block ×5, first 2 shown]
	v_add_f64 v[126:127], v[112:113], v[40:41]
	v_mul_f64 v[112:113], v[132:133], s[26:27]
	v_fma_f64 v[40:41], v[150:151], s[16:17], v[247:248]
	v_add_f64 v[40:41], v[40:41], v[42:43]
	v_fma_f64 v[42:43], v[163:164], s[16:17], -v[112:113]
	v_add_f64 v[42:43], v[42:43], v[126:127]
	s_and_saveexec_b32 s4, vcc_lo
	s_cbranch_execz .LBB0_7
; %bb.6:
	s_clause 0x1
	buffer_load_dword v0, off, s[60:63], 0 offset:484
	buffer_load_dword v1, off, s[60:63], 0 offset:488
	v_add_f64 v[52:53], v[24:25], v[52:53]
	v_add_f64 v[54:55], v[26:27], v[54:55]
	;; [unrolled: 1-line block ×4, first 2 shown]
	v_mul_f64 v[58:59], v[106:107], s[20:21]
	v_add_f64 v[52:53], v[52:53], v[60:61]
	v_add_f64 v[54:55], v[54:55], v[62:63]
	v_mul_f64 v[62:63], v[106:107], s[18:19]
	v_add_f64 v[58:59], v[58:59], -v[251:252]
	v_mul_f64 v[60:61], v[108:109], s[18:19]
	v_add_f64 v[52:53], v[52:53], v[68:69]
	v_add_f64 v[54:55], v[54:55], v[70:71]
	v_mul_f64 v[68:69], v[108:109], s[8:9]
	v_mul_f64 v[70:71], v[106:107], s[8:9]
	v_add_f64 v[62:63], v[62:63], -v[223:224]
	v_add_f64 v[58:59], v[24:25], v[58:59]
	v_add_f64 v[60:61], v[227:228], v[60:61]
	v_mul_f64 v[223:224], v[128:129], s[18:19]
	v_mul_f64 v[227:228], v[102:103], s[16:17]
	v_add_f64 v[52:53], v[52:53], v[72:73]
	v_mul_f64 v[72:73], v[108:109], s[6:7]
	v_add_f64 v[54:55], v[54:55], v[74:75]
	;; [unrolled: 2-line block ×3, first 2 shown]
	v_add_f64 v[70:71], v[70:71], -v[153:154]
	v_add_f64 v[62:63], v[24:25], v[62:63]
	v_add_f64 v[60:61], v[26:27], v[60:61]
	v_add_f64 v[52:53], v[52:53], v[76:77]
	v_mul_f64 v[76:77], v[108:109], s[0:1]
	v_add_f64 v[54:55], v[54:55], v[78:79]
	v_mul_f64 v[78:79], v[106:107], s[0:1]
	v_add_f64 v[68:69], v[26:27], v[68:69]
	v_add_f64 v[70:71], v[24:25], v[70:71]
	;; [unrolled: 1-line block ×14, first 2 shown]
	v_mul_f64 v[56:57], v[108:109], s[20:21]
	v_mul_f64 v[66:67], v[106:107], s[16:17]
	;; [unrolled: 1-line block ×3, first 2 shown]
	v_add_f64 v[38:39], v[52:53], v[38:39]
	v_add_f64 v[36:37], v[54:55], v[36:37]
	;; [unrolled: 1-line block ×3, first 2 shown]
	v_mul_f64 v[54:55], v[106:107], s[22:23]
	v_mul_f64 v[52:53], v[108:109], s[22:23]
	v_add_f64 v[66:67], v[66:67], -v[195:196]
	v_add_f64 v[64:65], v[201:202], v[64:65]
	v_mul_f64 v[201:202], v[155:156], s[8:9]
	v_add_f64 v[34:35], v[38:39], v[34:35]
	v_mul_f64 v[38:39], v[106:107], s[24:25]
	;; [unrolled: 2-line block ×3, first 2 shown]
	v_add_f64 v[54:55], v[54:55], -v[116:117]
	v_add_f64 v[52:53], v[118:119], v[52:53]
	v_add_f64 v[32:33], v[36:37], v[32:33]
	v_mul_f64 v[36:37], v[108:109], s[24:25]
	v_add_f64 v[66:67], v[24:25], v[66:67]
	v_add_f64 v[64:65], v[26:27], v[64:65]
	v_add_f64 v[38:39], v[38:39], -v[122:123]
	v_add_f64 v[56:57], v[56:57], -v[179:180]
	v_mul_f64 v[179:180], v[138:139], s[6:7]
	v_add_f64 v[86:87], v[24:25], v[54:55]
	v_mul_f64 v[54:55], v[159:160], s[24:25]
	v_add_f64 v[84:85], v[26:27], v[52:53]
	v_mul_f64 v[52:53], v[138:139], s[24:25]
	s_waitcnt vmcnt(0)
	v_add_f64 v[72:73], v[0:1], v[72:73]
	s_clause 0x1
	buffer_load_dword v0, off, s[60:63], 0 offset:476
	buffer_load_dword v1, off, s[60:63], 0 offset:480
	v_add_f64 v[36:37], v[124:125], v[36:37]
	v_add_f64 v[82:83], v[24:25], v[38:39]
	v_mul_f64 v[38:39], v[142:143], s[6:7]
	v_add_f64 v[175:176], v[179:180], -v[175:176]
	v_mul_f64 v[179:180], v[134:135], s[16:17]
	v_add_f64 v[187:188], v[187:188], v[54:55]
	v_mul_f64 v[54:55], v[146:147], s[6:7]
	v_add_f64 v[157:158], v[52:53], -v[207:208]
	v_mul_f64 v[52:53], v[134:135], s[0:1]
	v_add_f64 v[72:73], v[26:27], v[72:73]
	v_add_f64 v[80:81], v[26:27], v[36:37]
	v_mul_f64 v[207:208], v[102:103], s[24:25]
	v_add_f64 v[38:39], v[38:39], -v[211:212]
	v_mul_f64 v[211:212], v[120:121], s[0:1]
	v_add_f64 v[171:172], v[179:180], -v[171:172]
	v_mul_f64 v[179:180], v[120:121], s[22:23]
	v_add_f64 v[185:186], v[185:186], v[54:55]
	v_mul_f64 v[54:55], v[155:156], s[16:17]
	v_add_f64 v[195:196], v[52:53], -v[203:204]
	v_mul_f64 v[52:53], v[120:121], s[20:21]
	v_mul_f64 v[203:204], v[128:129], s[0:1]
	v_add_f64 v[167:168], v[179:180], -v[167:168]
	v_mul_f64 v[179:180], v[110:111], s[0:1]
	v_add_f64 v[181:182], v[181:182], v[54:55]
	v_mul_f64 v[54:55], v[128:129], s[22:23]
	v_add_f64 v[197:198], v[52:53], -v[197:198]
	v_mul_f64 v[52:53], v[110:111], s[16:17]
	v_add_f64 v[165:166], v[179:180], -v[165:166]
	v_mul_f64 v[179:180], v[100:101], s[18:19]
	v_add_f64 v[177:178], v[177:178], v[54:55]
	v_mul_f64 v[54:55], v[114:115], s[0:1]
	v_add_f64 v[193:194], v[52:53], -v[193:194]
	;; [unrolled: 6-line block ×3, first 2 shown]
	v_mul_f64 v[52:53], v[163:164], s[8:9]
	v_add_f64 v[58:59], v[161:162], v[58:59]
	v_add_f64 v[148:149], v[148:149], v[179:180]
	v_mul_f64 v[179:180], v[128:129], s[8:9]
	v_add_f64 v[169:170], v[169:170], v[54:55]
	v_mul_f64 v[54:55], v[150:151], s[8:9]
	;; [unrolled: 2-line block ×3, first 2 shown]
	v_add_f64 v[86:87], v[191:192], v[86:87]
	v_add_f64 v[58:59], v[165:166], v[58:59]
	;; [unrolled: 1-line block ×3, first 2 shown]
	v_mul_f64 v[179:180], v[114:115], s[6:7]
	v_add_f64 v[54:55], v[54:55], -v[183:184]
	v_mul_f64 v[183:184], v[134:135], s[24:25]
	v_add_f64 v[88:89], v[169:170], v[88:89]
	v_add_f64 v[86:87], v[193:194], v[86:87]
	;; [unrolled: 1-line block ×4, first 2 shown]
	v_mul_f64 v[179:180], v[102:103], s[22:23]
	v_add_f64 v[140:141], v[183:184], -v[140:141]
	v_mul_f64 v[183:184], v[120:121], s[8:9]
	v_add_f64 v[88:89], v[173:174], v[88:89]
	v_add_f64 v[86:87], v[197:198], v[86:87]
	;; [unrolled: 1-line block ×11, first 2 shown]
	s_waitcnt vmcnt(0)
	v_add_f64 v[74:75], v[74:75], -v[0:1]
	s_clause 0x1
	buffer_load_dword v0, off, s[60:63], 0 offset:92
	buffer_load_dword v1, off, s[60:63], 0 offset:96
	v_add_f64 v[74:75], v[24:25], v[74:75]
	s_waitcnt vmcnt(0)
	v_add_f64 v[76:77], v[0:1], v[76:77]
	s_clause 0x1
	buffer_load_dword v0, off, s[60:63], 0 offset:76
	buffer_load_dword v1, off, s[60:63], 0 offset:80
	v_add_f64 v[76:77], v[26:27], v[76:77]
	v_add_f64 v[26:27], v[32:33], v[28:29]
	v_mul_f64 v[28:29], v[163:164], s[16:17]
	v_mul_f64 v[32:33], v[142:143], s[18:19]
	v_add_f64 v[20:21], v[26:27], v[20:21]
	v_add_f64 v[32:33], v[32:33], -v[243:244]
	v_mul_f64 v[243:244], v[134:135], s[6:7]
	s_waitcnt vmcnt(0)
	v_add_f64 v[78:79], v[78:79], -v[0:1]
	s_clause 0x1
	buffer_load_dword v0, off, s[60:63], 0 offset:580
	buffer_load_dword v1, off, s[60:63], 0 offset:584
	v_add_f64 v[78:79], v[24:25], v[78:79]
	v_add_f64 v[24:25], v[34:35], v[30:31]
	v_mul_f64 v[34:35], v[138:139], s[8:9]
	v_add_f64 v[30:31], v[112:113], v[28:29]
	v_mul_f64 v[28:29], v[159:160], s[18:19]
	v_add_f64 v[22:23], v[24:25], v[22:23]
	v_add_f64 v[106:107], v[34:35], -v[239:240]
	v_mul_f64 v[34:35], v[134:135], s[20:21]
	v_add_f64 v[90:91], v[253:254], v[28:29]
	v_mul_f64 v[28:29], v[146:147], s[8:9]
	v_mul_f64 v[239:240], v[128:129], s[24:25]
	v_add_f64 v[108:109], v[34:35], -v[235:236]
	v_mul_f64 v[34:35], v[120:121], s[6:7]
	v_add_f64 v[92:93], v[249:250], v[28:29]
	v_mul_f64 v[28:29], v[155:156], s[20:21]
	v_mul_f64 v[235:236], v[110:111], s[8:9]
	;; [unrolled: 5-line block ×4, first 2 shown]
	v_mul_f64 v[241:242], v[120:121], s[16:17]
	v_add_f64 v[118:119], v[34:35], -v[225:226]
	v_mul_f64 v[34:35], v[163:164], s[18:19]
	v_mul_f64 v[225:226], v[100:101], s[20:21]
	v_add_f64 v[98:99], v[237:238], v[28:29]
	v_mul_f64 v[28:29], v[102:103], s[0:1]
	v_mul_f64 v[237:238], v[120:121], s[18:19]
	;; [unrolled: 1-line block ×3, first 2 shown]
	v_add_f64 v[82:83], v[118:119], v[82:83]
	v_add_f64 v[36:37], v[221:222], v[34:35]
	v_mul_f64 v[34:35], v[159:160], s[6:7]
	v_mul_f64 v[221:222], v[114:115], s[24:25]
	v_add_f64 v[104:105], v[231:232], v[28:29]
	v_mul_f64 v[231:232], v[110:111], s[24:25]
	v_mul_f64 v[118:119], v[159:160], s[22:23]
	;; [unrolled: 1-line block ×3, first 2 shown]
	v_add_f64 v[82:83], v[116:117], v[82:83]
	v_mul_f64 v[116:117], v[159:160], s[8:9]
	v_add_f64 v[122:123], v[219:220], v[34:35]
	v_mul_f64 v[34:35], v[146:147], s[24:25]
	v_mul_f64 v[219:220], v[102:103], s[20:21]
	v_add_f64 v[80:81], v[104:105], v[80:81]
	v_mul_f64 v[104:105], v[155:156], s[22:23]
	v_add_f64 v[28:29], v[28:29], -v[247:248]
	v_add_f64 v[82:83], v[112:113], v[82:83]
	v_mul_f64 v[112:113], v[146:147], s[20:21]
	v_add_f64 v[124:125], v[217:218], v[34:35]
	v_mul_f64 v[34:35], v[155:156], s[0:1]
	v_mul_f64 v[217:218], v[155:156], s[6:7]
	v_add_f64 v[80:81], v[98:99], v[80:81]
	v_mul_f64 v[98:99], v[134:135], s[22:23]
	v_add_f64 v[82:83], v[108:109], v[82:83]
	;; [unrolled: 2-line block ×3, first 2 shown]
	v_mul_f64 v[34:35], v[128:129], s[20:21]
	v_mul_f64 v[213:214], v[110:111], s[18:19]
	;; [unrolled: 1-line block ×4, first 2 shown]
	v_add_f64 v[80:81], v[96:97], v[80:81]
	v_mul_f64 v[96:97], v[155:156], s[18:19]
	v_add_f64 v[82:83], v[106:107], v[82:83]
	v_mul_f64 v[106:107], v[146:147], s[0:1]
	;; [unrolled: 2-line block ×3, first 2 shown]
	v_mul_f64 v[209:210], v[134:135], s[8:9]
	v_add_f64 v[80:81], v[94:95], v[80:81]
	v_mul_f64 v[94:95], v[134:135], s[18:19]
	v_add_f64 v[32:33], v[32:33], v[82:83]
	v_add_f64 v[132:133], v[205:206], v[34:35]
	v_mul_f64 v[34:35], v[102:103], s[8:9]
	v_mul_f64 v[205:206], v[114:115], s[18:19]
	;; [unrolled: 1-line block ×4, first 2 shown]
	v_add_f64 v[80:81], v[92:93], v[80:81]
	v_mul_f64 v[92:93], v[146:147], s[16:17]
	v_add_f64 v[28:29], v[28:29], v[32:33]
	v_add_f64 v[153:154], v[199:200], v[34:35]
	v_mul_f64 v[199:200], v[100:101], s[22:23]
	v_mul_f64 v[34:35], v[150:151], s[18:19]
	v_add_f64 v[80:81], v[90:91], v[80:81]
	v_mul_f64 v[90:91], v[138:139], s[16:17]
	v_add_f64 v[84:85], v[153:154], v[84:85]
	s_waitcnt vmcnt(0)
	v_add_f64 v[179:180], v[0:1], v[179:180]
	s_clause 0x1
	buffer_load_dword v0, off, s[60:63], 0 offset:588
	buffer_load_dword v1, off, s[60:63], 0 offset:592
	v_add_f64 v[34:35], v[34:35], -v[215:216]
	v_mul_f64 v[215:216], v[100:101], s[24:25]
	v_mul_f64 v[100:101], v[100:101], s[16:17]
	v_add_f64 v[30:31], v[30:31], v[80:81]
	v_add_f64 v[84:85], v[132:133], v[84:85]
	;; [unrolled: 1-line block ×12, first 2 shown]
	s_waitcnt vmcnt(0)
	v_add_f64 v[183:184], v[183:184], -v[0:1]
	s_clause 0x1
	buffer_load_dword v0, off, s[60:63], 0 offset:572
	buffer_load_dword v1, off, s[60:63], 0 offset:576
	s_waitcnt vmcnt(0)
	v_add_f64 v[189:190], v[189:190], -v[0:1]
	s_clause 0x1
	buffer_load_dword v0, off, s[60:63], 0 offset:564
	buffer_load_dword v1, off, s[60:63], 0 offset:568
	;; [unrolled: 5-line block ×3, first 2 shown]
	v_add_f64 v[62:63], v[199:200], v[62:63]
	v_add_f64 v[62:63], v[189:190], v[62:63]
	v_add_f64 v[62:63], v[183:184], v[62:63]
	v_add_f64 v[62:63], v[140:141], v[62:63]
	s_waitcnt vmcnt(0)
	v_add_f64 v[201:202], v[0:1], v[201:202]
	s_clause 0x1
	buffer_load_dword v0, off, s[60:63], 0 offset:548
	buffer_load_dword v1, off, s[60:63], 0 offset:552
	s_waitcnt vmcnt(0)
	v_add_f64 v[203:204], v[0:1], v[203:204]
	s_clause 0x1
	buffer_load_dword v0, off, s[60:63], 0 offset:532
	buffer_load_dword v1, off, s[60:63], 0 offset:536
	;; [unrolled: 5-line block ×4, first 2 shown]
	v_add_f64 v[64:65], v[207:208], v[64:65]
	v_add_f64 v[64:65], v[205:206], v[64:65]
	;; [unrolled: 1-line block ×4, first 2 shown]
	s_waitcnt vmcnt(0)
	v_add_f64 v[209:210], v[209:210], -v[0:1]
	s_clause 0x1
	buffer_load_dword v0, off, s[60:63], 0 offset:524
	buffer_load_dword v1, off, s[60:63], 0 offset:528
	s_waitcnt vmcnt(0)
	v_add_f64 v[211:212], v[211:212], -v[0:1]
	s_clause 0x1
	buffer_load_dword v0, off, s[60:63], 0 offset:508
	buffer_load_dword v1, off, s[60:63], 0 offset:512
	;; [unrolled: 5-line block ×4, first 2 shown]
	v_add_f64 v[66:67], v[215:216], v[66:67]
	v_add_f64 v[66:67], v[213:214], v[66:67]
	;; [unrolled: 1-line block ×4, first 2 shown]
	s_waitcnt vmcnt(0)
	v_add_f64 v[217:218], v[0:1], v[217:218]
	s_clause 0x1
	buffer_load_dword v0, off, s[60:63], 0 offset:372
	buffer_load_dword v1, off, s[60:63], 0 offset:376
	s_waitcnt vmcnt(0)
	v_add_f64 v[219:220], v[0:1], v[219:220]
	s_clause 0x1
	buffer_load_dword v0, off, s[60:63], 0 offset:388
	buffer_load_dword v1, off, s[60:63], 0 offset:392
	v_add_f64 v[68:69], v[219:220], v[68:69]
	s_waitcnt vmcnt(0)
	v_add_f64 v[221:222], v[0:1], v[221:222]
	s_clause 0x1
	buffer_load_dword v0, off, s[60:63], 0 offset:404
	buffer_load_dword v1, off, s[60:63], 0 offset:408
	v_add_f64 v[68:69], v[221:222], v[68:69]
	;; [unrolled: 6-line block ×3, first 2 shown]
	v_add_f64 v[68:69], v[217:218], v[68:69]
	s_waitcnt vmcnt(0)
	v_add_f64 v[225:226], v[225:226], -v[0:1]
	s_clause 0x1
	buffer_load_dword v0, off, s[60:63], 0 offset:268
	buffer_load_dword v1, off, s[60:63], 0 offset:272
	v_add_f64 v[70:71], v[225:226], v[70:71]
	s_waitcnt vmcnt(0)
	v_add_f64 v[227:228], v[0:1], v[227:228]
	s_clause 0x1
	buffer_load_dword v0, off, s[60:63], 0 offset:44
	buffer_load_dword v1, off, s[60:63], 0 offset:48
	v_add_f64 v[72:73], v[227:228], v[72:73]
	s_waitcnt vmcnt(0)
	v_add_f64 v[102:103], v[0:1], v[102:103]
	s_clause 0x1
	buffer_load_dword v0, off, s[60:63], 0 offset:36
	buffer_load_dword v1, off, s[60:63], 0 offset:40
	v_add_f64 v[76:77], v[102:103], v[76:77]
	v_mul_f64 v[102:103], v[138:139], s[22:23]
	s_waitcnt vmcnt(0)
	v_add_f64 v[229:230], v[229:230], -v[0:1]
	s_clause 0x1
	buffer_load_dword v0, off, s[60:63], 0 offset:364
	buffer_load_dword v1, off, s[60:63], 0 offset:368
	v_add_f64 v[78:79], v[229:230], v[78:79]
	s_waitcnt vmcnt(0)
	v_add_f64 v[231:232], v[231:232], -v[0:1]
	s_clause 0x1
	buffer_load_dword v0, off, s[60:63], 0 offset:228
	buffer_load_dword v1, off, s[60:63], 0 offset:232
	v_add_f64 v[70:71], v[231:232], v[70:71]
	;; [unrolled: 6-line block ×3, first 2 shown]
	v_mul_f64 v[100:101], v[146:147], s[22:23]
	s_waitcnt vmcnt(0)
	v_add_f64 v[233:234], v[0:1], v[233:234]
	s_clause 0x1
	buffer_load_dword v0, off, s[60:63], 0 offset:60
	buffer_load_dword v1, off, s[60:63], 0 offset:64
	v_add_f64 v[72:73], v[233:234], v[72:73]
	s_waitcnt vmcnt(0)
	v_add_f64 v[114:115], v[0:1], v[114:115]
	s_clause 0x1
	buffer_load_dword v0, off, s[60:63], 0 offset:52
	buffer_load_dword v1, off, s[60:63], 0 offset:56
	v_add_f64 v[76:77], v[114:115], v[76:77]
	v_mul_f64 v[114:115], v[159:160], s[16:17]
	s_waitcnt vmcnt(0)
	v_add_f64 v[235:236], v[235:236], -v[0:1]
	s_clause 0x1
	buffer_load_dword v0, off, s[60:63], 0 offset:236
	buffer_load_dword v1, off, s[60:63], 0 offset:240
	v_add_f64 v[78:79], v[235:236], v[78:79]
	s_waitcnt vmcnt(0)
	v_add_f64 v[110:111], v[110:111], -v[0:1]
	s_clause 0x1
	buffer_load_dword v0, off, s[60:63], 0 offset:348
	buffer_load_dword v1, off, s[60:63], 0 offset:352
	v_add_f64 v[74:75], v[110:111], v[74:75]
	v_mul_f64 v[110:111], v[146:147], s[18:19]
	s_waitcnt vmcnt(0)
	v_add_f64 v[237:238], v[237:238], -v[0:1]
	s_clause 0x1
	buffer_load_dword v0, off, s[60:63], 0 offset:252
	buffer_load_dword v1, off, s[60:63], 0 offset:256
	v_add_f64 v[70:71], v[237:238], v[70:71]
	s_waitcnt vmcnt(0)
	v_add_f64 v[239:240], v[0:1], v[239:240]
	s_clause 0x1
	buffer_load_dword v0, off, s[60:63], 0 offset:100
	buffer_load_dword v1, off, s[60:63], 0 offset:104
	v_add_f64 v[72:73], v[239:240], v[72:73]
	s_waitcnt vmcnt(0)
	v_add_f64 v[128:129], v[0:1], v[128:129]
	s_clause 0x1
	buffer_load_dword v0, off, s[60:63], 0 offset:68
	buffer_load_dword v1, off, s[60:63], 0 offset:72
	v_add_f64 v[76:77], v[128:129], v[76:77]
	s_waitcnt vmcnt(0)
	v_add_f64 v[241:242], v[241:242], -v[0:1]
	s_clause 0x1
	buffer_load_dword v0, off, s[60:63], 0 offset:220
	buffer_load_dword v1, off, s[60:63], 0 offset:224
	v_add_f64 v[78:79], v[241:242], v[78:79]
	s_waitcnt vmcnt(0)
	v_add_f64 v[120:121], v[120:121], -v[0:1]
	;; [unrolled: 6-line block ×3, first 2 shown]
	s_clause 0x1
	buffer_load_dword v0, off, s[60:63], 0 offset:244
	buffer_load_dword v1, off, s[60:63], 0 offset:248
	v_add_f64 v[70:71], v[243:244], v[70:71]
	s_waitcnt vmcnt(0)
	v_add_f64 v[104:105], v[0:1], v[104:105]
	s_clause 0x1
	buffer_load_dword v0, off, s[60:63], 0 offset:212
	buffer_load_dword v1, off, s[60:63], 0 offset:216
	v_add_f64 v[72:73], v[104:105], v[72:73]
	v_mul_f64 v[104:105], v[138:139], s[18:19]
	s_waitcnt vmcnt(0)
	v_add_f64 v[98:99], v[98:99], -v[0:1]
	s_clause 0x1
	buffer_load_dword v0, off, s[60:63], 0 offset:148
	buffer_load_dword v1, off, s[60:63], 0 offset:152
	v_add_f64 v[74:75], v[98:99], v[74:75]
	v_mul_f64 v[98:99], v[159:160], s[20:21]
	s_waitcnt vmcnt(0)
	v_add_f64 v[96:97], v[0:1], v[96:97]
	s_clause 0x1
	buffer_load_dword v0, off, s[60:63], 0 offset:108
	buffer_load_dword v1, off, s[60:63], 0 offset:112
	v_add_f64 v[76:77], v[96:97], v[76:77]
	v_mul_f64 v[96:97], v[138:139], s[20:21]
	s_waitcnt vmcnt(0)
	v_add_f64 v[94:95], v[94:95], -v[0:1]
	s_clause 0x1
	buffer_load_dword v0, off, s[60:63], 0 offset:492
	buffer_load_dword v1, off, s[60:63], 0 offset:496
	v_add_f64 v[78:79], v[94:95], v[78:79]
	v_mul_f64 v[94:95], v[159:160], s[0:1]
	;; [unrolled: 14-line block ×5, first 2 shown]
	s_waitcnt vmcnt(0)
	v_add_f64 v[110:111], v[0:1], v[110:111]
	s_clause 0x1
	buffer_load_dword v0, off, s[60:63], 0 offset:172
	buffer_load_dword v1, off, s[60:63], 0 offset:176
	v_add_f64 v[72:73], v[110:111], v[72:73]
	v_mul_f64 v[110:111], v[142:143], s[8:9]
	v_add_f64 v[110:111], v[110:111], -v[2:3]
	s_waitcnt vmcnt(0)
	v_add_f64 v[104:105], v[104:105], -v[0:1]
	s_clause 0x1
	buffer_load_dword v0, off, s[60:63], 0 offset:132
	buffer_load_dword v1, off, s[60:63], 0 offset:136
	v_add_f64 v[74:75], v[104:105], v[74:75]
	v_mul_f64 v[104:105], v[150:151], s[22:23]
	v_add_f64 v[110:111], v[110:111], v[74:75]
	s_waitcnt vmcnt(0)
	v_add_f64 v[112:113], v[0:1], v[112:113]
	s_clause 0x1
	buffer_load_dword v0, off, s[60:63], 0 offset:116
	buffer_load_dword v1, off, s[60:63], 0 offset:120
	v_add_f64 v[76:77], v[112:113], v[76:77]
	v_mul_f64 v[112:113], v[142:143], s[22:23]
	s_waitcnt vmcnt(0)
	v_add_f64 v[96:97], v[96:97], -v[0:1]
	s_clause 0x1
	buffer_load_dword v0, off, s[60:63], 0 offset:460
	buffer_load_dword v1, off, s[60:63], 0 offset:464
	v_add_f64 v[78:79], v[96:97], v[78:79]
	v_mul_f64 v[96:97], v[163:164], s[6:7]
	s_waitcnt vmcnt(0)
	v_add_f64 v[94:95], v[0:1], v[94:95]
	s_clause 0x1
	buffer_load_dword v0, off, s[60:63], 0 offset:452
	buffer_load_dword v1, off, s[60:63], 0 offset:456
	v_add_f64 v[60:61], v[94:95], v[60:61]
	v_mul_f64 v[94:95], v[150:151], s[20:21]
	s_waitcnt vmcnt(0)
	v_add_f64 v[92:93], v[92:93], -v[0:1]
	s_clause 0x1
	buffer_load_dword v0, off, s[60:63], 0 offset:396
	buffer_load_dword v1, off, s[60:63], 0 offset:400
	v_add_f64 v[92:93], v[92:93], v[62:63]
	s_waitcnt vmcnt(0)
	v_add_f64 v[98:99], v[0:1], v[98:99]
	s_clause 0x1
	buffer_load_dword v0, off, s[60:63], 0 offset:380
	buffer_load_dword v1, off, s[60:63], 0 offset:384
	v_add_f64 v[64:65], v[98:99], v[64:65]
	v_mul_f64 v[98:99], v[150:151], s[6:7]
	s_waitcnt vmcnt(0)
	v_add_f64 v[100:101], v[100:101], -v[0:1]
	s_clause 0x1
	buffer_load_dword v0, off, s[60:63], 0 offset:316
	buffer_load_dword v1, off, s[60:63], 0 offset:320
	v_add_f64 v[100:101], v[100:101], v[66:67]
	;; [unrolled: 13-line block ×3, first 2 shown]
	s_waitcnt vmcnt(0)
	v_add_f64 v[116:117], v[0:1], v[116:117]
	s_clause 0x1
	buffer_load_dword v0, off, s[60:63], 0 offset:156
	buffer_load_dword v1, off, s[60:63], 0 offset:160
	v_add_f64 v[72:73], v[116:117], v[72:73]
	v_mul_f64 v[116:117], v[163:164], s[24:25]
	s_waitcnt vmcnt(0)
	v_add_f64 v[118:119], v[0:1], v[118:119]
	s_clause 0x1
	buffer_load_dword v0, off, s[60:63], 0 offset:124
	buffer_load_dword v1, off, s[60:63], 0 offset:128
	v_add_f64 v[76:77], v[118:119], v[76:77]
	v_mul_f64 v[118:119], v[150:151], s[24:25]
	s_waitcnt vmcnt(0)
	v_add_f64 v[112:113], v[112:113], -v[0:1]
	s_clause 0x1
	buffer_load_dword v0, off, s[60:63], 0 offset:444
	buffer_load_dword v1, off, s[60:63], 0 offset:448
	v_add_f64 v[78:79], v[112:113], v[78:79]
	v_add_f64 v[112:113], v[56:57], v[58:59]
	;; [unrolled: 1-line block ×4, first 2 shown]
	s_waitcnt vmcnt(0)
	v_add_f64 v[90:91], v[0:1], v[90:91]
	s_clause 0x1
	buffer_load_dword v0, off, s[60:63], 0 offset:436
	buffer_load_dword v1, off, s[60:63], 0 offset:440
	v_add_f64 v[60:61], v[90:91], v[60:61]
	s_waitcnt vmcnt(0)
	v_add_f64 v[94:95], v[94:95], -v[0:1]
	s_clause 0x1
	buffer_load_dword v0, off, s[60:63], 0 offset:340
	buffer_load_dword v1, off, s[60:63], 0 offset:344
	v_add_f64 v[58:59], v[94:95], v[92:93]
	s_waitcnt vmcnt(0)
	v_add_f64 v[96:97], v[0:1], v[96:97]
	s_clause 0x1
	buffer_load_dword v0, off, s[60:63], 0 offset:324
	buffer_load_dword v1, off, s[60:63], 0 offset:328
	v_add_f64 v[64:65], v[96:97], v[64:65]
	s_waitcnt vmcnt(0)
	v_add_f64 v[98:99], v[98:99], -v[0:1]
	s_clause 0x1
	buffer_load_dword v0, off, s[60:63], 0 offset:308
	buffer_load_dword v1, off, s[60:63], 0 offset:312
	v_add_f64 v[62:63], v[98:99], v[100:101]
	;; [unrolled: 12-line block ×4, first 2 shown]
	s_waitcnt vmcnt(0)
	v_add_f64 v[116:117], v[0:1], v[116:117]
	s_clause 0x1
	buffer_load_dword v0, off, s[60:63], 0 offset:140
	buffer_load_dword v1, off, s[60:63], 0 offset:144
	v_add_f64 v[76:77], v[116:117], v[76:77]
	s_waitcnt vmcnt(0)
	v_add_f64 v[118:119], v[118:119], -v[0:1]
	buffer_load_dword v0, off, s[60:63], 0 offset:32 ; 4-byte Folded Reload
	v_add_f64 v[74:75], v[118:119], v[78:79]
	s_waitcnt vmcnt(0)
	v_and_b32_e32 v0, 0xffff, v0
	v_add_lshl_u32 v0, v152, v0, 4
	ds_write_b128 v0, v[20:23]
	ds_write_b128 v0, v[74:77] offset:16
	ds_write_b128 v0, v[70:73] offset:32
	;; [unrolled: 1-line block ×15, first 2 shown]
	s_clause 0x3
	buffer_load_dword v20, off, s[60:63], 0 offset:16
	buffer_load_dword v21, off, s[60:63], 0 offset:20
	;; [unrolled: 1-line block ×4, first 2 shown]
	s_waitcnt vmcnt(0)
	ds_write_b128 v0, v[20:23] offset:256
.LBB0_7:
	s_or_b32 exec_lo, exec_lo, s4
	buffer_load_dword v0, off, s[60:63], 0  ; 4-byte Folded Reload
	s_waitcnt vmcnt(0) lgkmcnt(0)
	s_waitcnt_vscnt null, 0x0
	s_barrier
	buffer_gl0_inv
	v_add_lshl_u32 v255, v152, v0, 4
	v_cmp_gt_u16_e64 s0, 34, v0
	ds_read_b128 v[28:31], v255
	ds_read_b128 v[36:39], v255 offset:816
	ds_read_b128 v[52:55], v255 offset:5984
	ds_read_b128 v[92:95], v255 offset:6800
	ds_read_b128 v[84:87], v255 offset:2992
	ds_read_b128 v[32:35], v255 offset:1632
	ds_read_b128 v[96:99], v255 offset:3808
	ds_read_b128 v[88:91], v255 offset:4624
	ds_read_b128 v[56:59], v255 offset:7616
	s_and_saveexec_b32 s1, s0
	s_cbranch_execz .LBB0_9
; %bb.8:
	ds_read_b128 v[40:43], v255 offset:2448
	ds_read_b128 v[48:51], v255 offset:5440
	;; [unrolled: 1-line block ×3, first 2 shown]
.LBB0_9:
	s_or_b32 exec_lo, exec_lo, s1
	buffer_load_dword v24, off, s[60:63], 0 ; 4-byte Folded Reload
	s_mov_b32 s8, 0xe8584caa
	s_mov_b32 s9, 0x3febb67a
	;; [unrolled: 1-line block ×4, first 2 shown]
	s_waitcnt vmcnt(0)
	v_and_b32_e32 v0, 0xff, v24
	v_add_nc_u16 v1, v24, 51
	v_add_nc_u16 v3, v24, 0x66
	;; [unrolled: 1-line block ×3, first 2 shown]
	v_mul_lo_u16 v0, 0xf1, v0
	v_and_b32_e32 v2, 0xff, v1
	v_and_b32_e32 v21, 0xff, v3
	;; [unrolled: 1-line block ×3, first 2 shown]
	v_lshrrev_b16 v0, 12, v0
	v_mul_lo_u16 v2, 0xf1, v2
	v_mul_lo_u16 v21, 0xf1, v21
	;; [unrolled: 1-line block ×4, first 2 shown]
	v_lshrrev_b16 v2, 12, v2
	v_lshrrev_b16 v141, 12, v21
	;; [unrolled: 1-line block ×3, first 2 shown]
	v_sub_nc_u16 v140, v24, v22
	v_mul_lo_u16 v22, v2, 17
	v_mov_b32_e32 v24, 5
	buffer_store_dword v25, off, s[60:63], 0 offset:36 ; 4-byte Folded Spill
	v_mul_lo_u16 v25, v25, 17
	v_lshlrev_b16 v21, 1, v140
	v_sub_nc_u16 v1, v1, v22
	v_mul_lo_u16 v22, v141, 17
	v_mad_u16 v0, v0, 51, v140
	v_and_b32_e32 v21, 0xfe, v21
	v_lshlrev_b32_sdwa v23, v24, v1 dst_sel:DWORD dst_unused:UNUSED_PAD src0_sel:DWORD src1_sel:BYTE_0
	v_sub_nc_u16 v3, v3, v22
	v_sub_nc_u16 v22, v20, v25
	v_and_b32_e32 v0, 0xff, v0
	v_lshlrev_b32_e32 v21, 4, v21
	s_clause 0x1
	global_load_dwordx4 v[64:67], v23, s[2:3]
	global_load_dwordx4 v[60:63], v23, s[2:3] offset:16
	v_lshlrev_b32_sdwa v20, v24, v3 dst_sel:DWORD dst_unused:UNUSED_PAD src0_sel:DWORD src1_sel:BYTE_0
	s_clause 0x1
	global_load_dwordx4 v[80:83], v21, s[2:3]
	global_load_dwordx4 v[76:79], v21, s[2:3] offset:16
	v_lshlrev_b32_sdwa v21, v24, v22 dst_sel:DWORD dst_unused:UNUSED_PAD src0_sel:DWORD src1_sel:BYTE_0
	buffer_store_dword v22, off, s[60:63], 0 offset:44 ; 4-byte Folded Spill
	s_clause 0x3
	global_load_dwordx4 v[72:75], v20, s[2:3]
	global_load_dwordx4 v[68:71], v20, s[2:3] offset:16
	global_load_dwordx4 v[24:27], v21, s[2:3]
	global_load_dwordx4 v[20:23], v21, s[2:3] offset:16
	s_waitcnt vmcnt(7) lgkmcnt(2)
	v_mul_f64 v[100:101], v[98:99], v[66:67]
	v_mul_f64 v[102:103], v[96:97], v[66:67]
	s_waitcnt vmcnt(6)
	v_mul_f64 v[104:105], v[94:95], v[62:63]
	v_mul_f64 v[106:107], v[92:93], v[62:63]
	s_waitcnt vmcnt(5)
	v_mul_f64 v[108:109], v[86:87], v[82:83]
	s_waitcnt vmcnt(4)
	v_mul_f64 v[110:111], v[54:55], v[78:79]
	v_mul_f64 v[112:113], v[84:85], v[82:83]
	;; [unrolled: 1-line block ×3, first 2 shown]
	s_waitcnt vmcnt(3) lgkmcnt(1)
	v_mul_f64 v[116:117], v[90:91], v[74:75]
	s_waitcnt vmcnt(0) lgkmcnt(0)
	v_mul_f64 v[128:129], v[46:47], v[22:23]
	v_mul_f64 v[130:131], v[44:45], v[22:23]
	;; [unrolled: 1-line block ×7, first 2 shown]
	v_fma_f64 v[96:97], v[96:97], v[64:65], -v[100:101]
	v_fma_f64 v[98:99], v[98:99], v[64:65], v[102:103]
	v_fma_f64 v[92:93], v[92:93], v[60:61], -v[104:105]
	v_fma_f64 v[94:95], v[94:95], v[60:61], v[106:107]
	v_fma_f64 v[84:85], v[84:85], v[80:81], -v[108:109]
	v_fma_f64 v[100:101], v[52:53], v[76:77], -v[110:111]
	v_fma_f64 v[86:87], v[86:87], v[80:81], v[112:113]
	v_fma_f64 v[102:103], v[54:55], v[76:77], v[114:115]
	v_fma_f64 v[53:54], v[88:89], v[72:73], -v[116:117]
	v_fma_f64 v[44:45], v[44:45], v[20:21], -v[128:129]
	buffer_store_dword v20, off, s[60:63], 0 offset:76 ; 4-byte Folded Spill
	buffer_store_dword v21, off, s[60:63], 0 offset:80 ; 4-byte Folded Spill
	;; [unrolled: 1-line block ×4, first 2 shown]
	v_fma_f64 v[88:89], v[90:91], v[72:73], v[118:119]
	v_fma_f64 v[55:56], v[56:57], v[68:69], -v[120:121]
	v_fma_f64 v[57:58], v[58:59], v[68:69], v[122:123]
	v_fma_f64 v[48:49], v[48:49], v[24:25], -v[124:125]
	v_fma_f64 v[50:51], v[50:51], v[24:25], v[126:127]
	v_mov_b32_e32 v52, 51
	v_mul_u32_u24_sdwa v2, v2, v52 dst_sel:DWORD dst_unused:UNUSED_PAD src0_sel:WORD_0 src1_sel:DWORD
	v_add_f64 v[118:119], v[36:37], v[96:97]
	v_mul_u32_u24_sdwa v59, v141, v52 dst_sel:DWORD dst_unused:UNUSED_PAD src0_sel:WORD_0 src1_sel:DWORD
	v_add_f64 v[90:91], v[96:97], v[92:93]
	v_add_f64 v[104:105], v[98:99], v[94:95]
	v_add_f64 v[120:121], v[98:99], -v[94:95]
	v_add_f64 v[106:107], v[84:85], v[100:101]
	v_add_f64 v[98:99], v[38:39], v[98:99]
	;; [unrolled: 1-line block ×3, first 2 shown]
	v_add_f64 v[122:123], v[96:97], -v[92:93]
	v_add_f64 v[96:97], v[32:33], v[53:54]
	v_add_f64 v[126:127], v[28:29], v[84:85]
	;; [unrolled: 1-line block ×7, first 2 shown]
	v_add_f64 v[134:135], v[88:89], -v[57:58]
	v_add_f64 v[136:137], v[53:54], -v[55:56]
	v_add_nc_u32_sdwa v1, v2, v1 dst_sel:DWORD dst_unused:UNUSED_PAD src0_sel:DWORD src1_sel:BYTE_0
	v_add_nc_u32_sdwa v2, v59, v3 dst_sel:DWORD dst_unused:UNUSED_PAD src0_sel:DWORD src1_sel:BYTE_0
	v_add_lshl_u32 v3, v152, v0, 4
	v_add_lshl_u32 v1, v152, v1, 4
	v_fma_f64 v[90:91], v[90:91], -0.5, v[36:37]
	v_fma_f64 v[132:133], v[104:105], -0.5, v[38:39]
	v_add_f64 v[36:37], v[118:119], v[92:93]
	v_fma_f64 v[104:105], v[106:107], -0.5, v[28:29]
	v_add_f64 v[106:107], v[84:85], -v[100:101]
	v_fma_f64 v[108:109], v[108:109], -0.5, v[30:31]
	v_add_f64 v[38:39], v[98:99], v[94:95]
	v_add_f64 v[53:54], v[96:97], v[55:56]
	;; [unrolled: 1-line block ×4, first 2 shown]
	v_fma_f64 v[110:111], v[110:111], -0.5, v[32:33]
	v_fma_f64 v[138:139], v[112:113], -0.5, v[34:35]
	v_add_f64 v[34:35], v[48:49], -v[44:45]
	v_fma_f64 v[28:29], v[114:115], -0.5, v[40:41]
	v_add_lshl_u32 v0, v152, v2, 4
	v_fma_f64 v[96:97], v[120:121], s[4:5], v[90:91]
	v_fma_f64 v[98:99], v[122:123], s[8:9], v[132:133]
	;; [unrolled: 1-line block ×7, first 2 shown]
	v_add_f64 v[130:131], v[86:87], -v[102:103]
	v_add_f64 v[86:87], v[128:129], v[102:103]
	v_fma_f64 v[102:103], v[106:107], s[4:5], v[108:109]
	v_fma_f64 v[106:107], v[106:107], s[8:9], v[108:109]
	;; [unrolled: 1-line block ×4, first 2 shown]
	v_add_f64 v[116:117], v[50:51], v[46:47]
	v_add_f64 v[30:31], v[50:51], -v[46:47]
	v_fma_f64 v[100:101], v[130:131], s[8:9], v[104:105]
	v_fma_f64 v[104:105], v[130:131], s[4:5], v[104:105]
	v_fma_f64 v[32:33], v[116:117], -0.5, v[42:43]
	v_fma_f64 v[92:93], v[30:31], s[4:5], v[28:29]
	s_load_dwordx4 s[4:7], s[10:11], 0x0
	s_waitcnt lgkmcnt(0)
	s_waitcnt_vscnt null, 0x0
	s_barrier
	buffer_gl0_inv
	ds_write_b128 v3, v[84:87]
	ds_write_b128 v3, v[100:103] offset:272
	buffer_store_dword v3, off, s[60:63], 0 offset:68 ; 4-byte Folded Spill
	ds_write_b128 v3, v[104:107] offset:544
	ds_write_b128 v1, v[36:39]
	ds_write_b128 v1, v[88:91] offset:272
	buffer_store_dword v1, off, s[60:63], 0 offset:60 ; 4-byte Folded Spill
	ds_write_b128 v1, v[96:99] offset:544
	;; [unrolled: 4-line block ×3, first 2 shown]
	v_fma_f64 v[94:95], v[34:35], s[8:9], v[32:33]
	s_mov_b32 s1, exec_lo
	s_clause 0x3
	buffer_load_dword v20, off, s[60:63], 0 offset:16
	buffer_load_dword v21, off, s[60:63], 0 offset:20
	buffer_load_dword v22, off, s[60:63], 0 offset:24
	buffer_load_dword v23, off, s[60:63], 0 offset:28
	s_and_b32 s10, s1, s0
	s_mov_b32 exec_lo, s10
	s_cbranch_execz .LBB0_11
; %bb.10:
	s_clause 0x1
	buffer_load_dword v0, off, s[60:63], 0 offset:36
	buffer_load_dword v1, off, s[60:63], 0 offset:44
	v_mul_f64 v[34:35], v[34:35], s[8:9]
	v_add_f64 v[36:37], v[42:43], v[50:51]
	v_add_f64 v[38:39], v[40:41], v[48:49]
	v_mul_f64 v[40:41], v[30:31], s[8:9]
	v_add_f64 v[30:31], v[32:33], -v[34:35]
	v_add_f64 v[34:35], v[36:37], v[46:47]
	v_add_f64 v[32:33], v[38:39], v[44:45]
	;; [unrolled: 1-line block ×3, first 2 shown]
	s_waitcnt vmcnt(1)
	v_mul_u32_u24_sdwa v0, v0, v52 dst_sel:DWORD dst_unused:UNUSED_PAD src0_sel:WORD_0 src1_sel:DWORD
	s_waitcnt vmcnt(0)
	v_add_nc_u32_sdwa v0, v0, v1 dst_sel:DWORD dst_unused:UNUSED_PAD src0_sel:DWORD src1_sel:BYTE_0
	v_add_lshl_u32 v0, v152, v0, 4
	ds_write_b128 v0, v[32:35]
	ds_write_b128 v0, v[28:31] offset:272
	ds_write_b128 v0, v[92:95] offset:544
.LBB0_11:
	s_or_b32 exec_lo, exec_lo, s1
	s_waitcnt vmcnt(0) lgkmcnt(0)
	s_waitcnt_vscnt null, 0x0
	s_barrier
	buffer_gl0_inv
	ds_read_b128 v[100:103], v255
	ds_read_b128 v[40:43], v255 offset:816
	ds_read_b128 v[44:47], v255 offset:1632
	;; [unrolled: 1-line block ×10, first 2 shown]
	buffer_load_dword v0, off, s[60:63], 0  ; 4-byte Folded Reload
	s_mov_b32 s28, 0xf8bb580b
	s_mov_b32 s8, 0x43842ef
	;; [unrolled: 1-line block ×24, first 2 shown]
	s_waitcnt vmcnt(0)
	v_mad_u64_u32 v[144:145], null, 0xa0, v0, s[2:3]
	s_mov_b32 s2, 0x640f44db
	s_mov_b32 s3, 0xbfc2375f
	s_clause 0x3
	global_load_dwordx4 v[28:31], v[144:145], off offset:592
	global_load_dwordx4 v[32:35], v[144:145], off offset:576
	;; [unrolled: 1-line block ×4, first 2 shown]
	s_waitcnt vmcnt(0) lgkmcnt(9)
	v_mul_f64 v[104:105], v[42:43], v[58:59]
	v_fma_f64 v[146:147], v[40:41], v[56:57], -v[104:105]
	v_mul_f64 v[40:41], v[40:41], v[58:59]
	v_fma_f64 v[148:149], v[42:43], v[56:57], v[40:41]
	s_waitcnt lgkmcnt(8)
	v_mul_f64 v[40:41], v[46:47], v[38:39]
	v_fma_f64 v[130:131], v[44:45], v[36:37], -v[40:41]
	v_mul_f64 v[40:41], v[44:45], v[38:39]
	v_fma_f64 v[128:129], v[46:47], v[36:37], v[40:41]
	s_waitcnt lgkmcnt(7)
	;; [unrolled: 5-line block ×3, first 2 shown]
	v_mul_f64 v[40:41], v[54:55], v[30:31]
	v_fma_f64 v[116:117], v[52:53], v[28:29], -v[40:41]
	v_mul_f64 v[40:41], v[52:53], v[30:31]
	v_fma_f64 v[112:113], v[54:55], v[28:29], v[40:41]
	s_clause 0x3
	global_load_dwordx4 v[52:55], v[144:145], off offset:656
	global_load_dwordx4 v[48:51], v[144:145], off offset:640
	;; [unrolled: 1-line block ×4, first 2 shown]
	s_waitcnt vmcnt(0) lgkmcnt(5)
	v_mul_f64 v[104:105], v[86:87], v[46:47]
	v_fma_f64 v[108:109], v[84:85], v[44:45], -v[104:105]
	v_mul_f64 v[84:85], v[84:85], v[46:47]
	v_fma_f64 v[104:105], v[86:87], v[44:45], v[84:85]
	s_waitcnt lgkmcnt(4)
	v_mul_f64 v[84:85], v[90:91], v[42:43]
	v_fma_f64 v[110:111], v[88:89], v[40:41], -v[84:85]
	v_mul_f64 v[84:85], v[88:89], v[42:43]
	v_fma_f64 v[106:107], v[90:91], v[40:41], v[84:85]
	s_waitcnt lgkmcnt(3)
	;; [unrolled: 5-line block ×3, first 2 shown]
	v_mul_f64 v[84:85], v[134:135], v[54:55]
	v_add_f64 v[98:99], v[102:103], v[148:149]
	v_fma_f64 v[126:127], v[132:133], v[52:53], -v[84:85]
	v_mul_f64 v[84:85], v[132:133], v[54:55]
	v_add_f64 v[98:99], v[98:99], v[128:129]
	v_fma_f64 v[122:123], v[134:135], v[52:53], v[84:85]
	s_clause 0x1
	global_load_dwordx4 v[84:87], v[144:145], off offset:688
	global_load_dwordx4 v[88:91], v[144:145], off offset:672
	v_add_f64 v[98:99], v[98:99], v[120:121]
	buffer_load_dword v1, off, s[60:63], 0 offset:4 ; 4-byte Folded Reload
	v_add_f64 v[98:99], v[98:99], v[112:113]
	v_add_f64 v[98:99], v[98:99], v[104:105]
	;; [unrolled: 1-line block ×5, first 2 shown]
	s_waitcnt vmcnt(1) lgkmcnt(1)
	v_mul_f64 v[96:97], v[138:139], v[90:91]
	v_fma_f64 v[134:135], v[136:137], v[88:89], -v[96:97]
	v_mul_f64 v[96:97], v[136:137], v[90:91]
	v_fma_f64 v[132:133], v[138:139], v[88:89], v[96:97]
	s_waitcnt lgkmcnt(0)
	v_mul_f64 v[96:97], v[142:143], v[86:87]
	v_add_f64 v[98:99], v[98:99], v[132:133]
	v_fma_f64 v[136:137], v[140:141], v[84:85], -v[96:97]
	v_mul_f64 v[96:97], v[140:141], v[86:87]
	v_add_f64 v[140:141], v[146:147], v[136:137]
	v_fma_f64 v[138:139], v[142:143], v[84:85], v[96:97]
	v_add_f64 v[96:97], v[100:101], v[146:147]
	v_add_f64 v[98:99], v[98:99], v[138:139]
	;; [unrolled: 1-line block ×4, first 2 shown]
	v_add_f64 v[138:139], v[148:149], -v[138:139]
	v_add_f64 v[96:97], v[96:97], v[124:125]
	v_mul_f64 v[144:145], v[138:139], s[28:29]
	v_mul_f64 v[152:153], v[138:139], s[10:11]
	;; [unrolled: 1-line block ×5, first 2 shown]
	v_add_f64 v[96:97], v[96:97], v[116:117]
	v_fma_f64 v[154:155], v[140:141], s[16:17], -v[152:153]
	v_fma_f64 v[152:153], v[140:141], s[16:17], v[152:153]
	v_fma_f64 v[162:163], v[140:141], s[2:3], -v[160:161]
	v_fma_f64 v[160:161], v[140:141], s[2:3], v[160:161]
	;; [unrolled: 2-line block ×4, first 2 shown]
	v_add_f64 v[96:97], v[96:97], v[108:109]
	v_add_f64 v[154:155], v[100:101], v[154:155]
	;; [unrolled: 1-line block ×13, first 2 shown]
	v_add_f64 v[136:137], v[146:147], -v[136:137]
	v_fma_f64 v[146:147], v[140:141], s[18:19], -v[144:145]
	v_fma_f64 v[144:145], v[140:141], s[18:19], v[144:145]
	v_mul_f64 v[148:149], v[136:137], s[28:29]
	v_mul_f64 v[156:157], v[136:137], s[10:11]
	;; [unrolled: 1-line block ×5, first 2 shown]
	v_add_f64 v[146:147], v[100:101], v[146:147]
	v_add_f64 v[144:145], v[100:101], v[144:145]
	;; [unrolled: 1-line block ×4, first 2 shown]
	v_add_f64 v[128:129], v[128:129], -v[132:133]
	v_fma_f64 v[150:151], v[142:143], s[18:19], v[148:149]
	v_fma_f64 v[148:149], v[142:143], s[18:19], -v[148:149]
	v_fma_f64 v[158:159], v[142:143], s[16:17], v[156:157]
	v_fma_f64 v[156:157], v[142:143], s[16:17], -v[156:157]
	;; [unrolled: 2-line block ×5, first 2 shown]
	v_mul_f64 v[132:133], v[128:129], s[10:11]
	v_add_f64 v[150:151], v[102:103], v[150:151]
	v_add_f64 v[148:149], v[102:103], v[148:149]
	;; [unrolled: 1-line block ×11, first 2 shown]
	v_add_f64 v[130:131], v[130:131], -v[134:135]
	v_fma_f64 v[134:135], v[136:137], s[16:17], -v[132:133]
	v_fma_f64 v[132:133], v[136:137], s[16:17], v[132:133]
	v_mul_f64 v[140:141], v[130:131], s[10:11]
	s_mov_b32 s11, 0x3fed1bb4
	v_add_f64 v[134:135], v[134:135], v[146:147]
	v_add_f64 v[132:133], v[132:133], v[144:145]
	v_mul_f64 v[144:145], v[128:129], s[20:21]
	v_fma_f64 v[142:143], v[138:139], s[16:17], v[140:141]
	v_fma_f64 v[140:141], v[138:139], s[16:17], -v[140:141]
	v_fma_f64 v[146:147], v[136:137], s[22:23], -v[144:145]
	v_fma_f64 v[144:145], v[136:137], s[22:23], v[144:145]
	v_add_f64 v[140:141], v[140:141], v[148:149]
	v_mul_f64 v[148:149], v[130:131], s[20:21]
	v_add_f64 v[142:143], v[142:143], v[150:151]
	v_add_f64 v[146:147], v[146:147], v[154:155]
	;; [unrolled: 1-line block ×3, first 2 shown]
	v_mul_f64 v[152:153], v[128:129], s[36:37]
	v_fma_f64 v[150:151], v[138:139], s[22:23], v[148:149]
	v_fma_f64 v[148:149], v[138:139], s[22:23], -v[148:149]
	v_fma_f64 v[154:155], v[136:137], s[24:25], -v[152:153]
	v_fma_f64 v[152:153], v[136:137], s[24:25], v[152:153]
	v_add_f64 v[148:149], v[148:149], v[156:157]
	v_mul_f64 v[156:157], v[130:131], s[36:37]
	v_add_f64 v[150:151], v[150:151], v[158:159]
	v_add_f64 v[154:155], v[154:155], v[162:163]
	;; [unrolled: 1-line block ×3, first 2 shown]
	v_mul_f64 v[160:161], v[128:129], s[34:35]
	v_fma_f64 v[158:159], v[138:139], s[24:25], v[156:157]
	v_fma_f64 v[156:157], v[138:139], s[24:25], -v[156:157]
	v_mul_f64 v[128:129], v[128:129], s[30:31]
	v_fma_f64 v[162:163], v[136:137], s[2:3], -v[160:161]
	v_fma_f64 v[160:161], v[136:137], s[2:3], v[160:161]
	v_add_f64 v[156:157], v[156:157], v[164:165]
	v_mul_f64 v[164:165], v[130:131], s[34:35]
	v_mul_f64 v[130:131], v[130:131], s[30:31]
	v_add_f64 v[158:159], v[158:159], v[166:167]
	v_add_f64 v[162:163], v[162:163], v[170:171]
	;; [unrolled: 1-line block ×3, first 2 shown]
	v_fma_f64 v[168:169], v[136:137], s[18:19], -v[128:129]
	v_fma_f64 v[128:129], v[136:137], s[18:19], v[128:129]
	v_fma_f64 v[170:171], v[138:139], s[18:19], v[130:131]
	;; [unrolled: 1-line block ×3, first 2 shown]
	v_fma_f64 v[164:165], v[138:139], s[2:3], -v[164:165]
	v_add_f64 v[168:169], v[168:169], v[176:177]
	v_add_f64 v[100:101], v[128:129], v[100:101]
	v_fma_f64 v[128:129], v[138:139], s[18:19], -v[130:131]
	v_add_f64 v[130:131], v[120:121], v[122:123]
	v_add_f64 v[120:121], v[120:121], -v[122:123]
	v_add_f64 v[166:167], v[166:167], v[174:175]
	v_add_f64 v[164:165], v[164:165], v[172:173]
	;; [unrolled: 1-line block ×5, first 2 shown]
	v_mul_f64 v[122:123], v[120:121], s[8:9]
	v_add_f64 v[124:125], v[124:125], -v[126:127]
	v_fma_f64 v[126:127], v[128:129], s[2:3], -v[122:123]
	v_fma_f64 v[122:123], v[128:129], s[2:3], v[122:123]
	v_add_f64 v[126:127], v[126:127], v[134:135]
	v_mul_f64 v[134:135], v[124:125], s[8:9]
	v_add_f64 v[122:123], v[122:123], v[132:133]
	v_fma_f64 v[136:137], v[130:131], s[2:3], v[134:135]
	v_fma_f64 v[132:133], v[130:131], s[2:3], -v[134:135]
	v_mul_f64 v[134:135], v[120:121], s[36:37]
	v_add_f64 v[136:137], v[136:137], v[142:143]
	v_add_f64 v[132:133], v[132:133], v[140:141]
	v_fma_f64 v[138:139], v[128:129], s[24:25], -v[134:135]
	v_fma_f64 v[134:135], v[128:129], s[24:25], v[134:135]
	v_mul_f64 v[140:141], v[124:125], s[36:37]
	v_add_f64 v[138:139], v[138:139], v[146:147]
	v_add_f64 v[134:135], v[134:135], v[144:145]
	v_mul_f64 v[144:145], v[120:121], s[10:11]
	v_fma_f64 v[142:143], v[130:131], s[24:25], v[140:141]
	v_fma_f64 v[140:141], v[130:131], s[24:25], -v[140:141]
	v_fma_f64 v[146:147], v[128:129], s[16:17], -v[144:145]
	v_fma_f64 v[144:145], v[128:129], s[16:17], v[144:145]
	v_add_f64 v[140:141], v[140:141], v[148:149]
	v_mul_f64 v[148:149], v[124:125], s[10:11]
	v_add_f64 v[142:143], v[142:143], v[150:151]
	v_add_f64 v[146:147], v[146:147], v[154:155]
	;; [unrolled: 1-line block ×3, first 2 shown]
	v_mul_f64 v[152:153], v[120:121], s[28:29]
	v_fma_f64 v[150:151], v[130:131], s[16:17], v[148:149]
	v_fma_f64 v[148:149], v[130:131], s[16:17], -v[148:149]
	v_mul_f64 v[120:121], v[120:121], s[20:21]
	v_fma_f64 v[154:155], v[128:129], s[18:19], -v[152:153]
	v_fma_f64 v[152:153], v[128:129], s[18:19], v[152:153]
	v_add_f64 v[148:149], v[148:149], v[156:157]
	v_mul_f64 v[156:157], v[124:125], s[28:29]
	v_mul_f64 v[124:125], v[124:125], s[20:21]
	v_add_f64 v[150:151], v[150:151], v[158:159]
	v_add_f64 v[154:155], v[154:155], v[162:163]
	;; [unrolled: 1-line block ×3, first 2 shown]
	v_fma_f64 v[160:161], v[128:129], s[22:23], -v[120:121]
	v_fma_f64 v[120:121], v[128:129], s[22:23], v[120:121]
	v_fma_f64 v[162:163], v[130:131], s[22:23], v[124:125]
	;; [unrolled: 1-line block ×3, first 2 shown]
	v_fma_f64 v[156:157], v[130:131], s[18:19], -v[156:157]
	v_add_f64 v[160:161], v[160:161], v[168:169]
	v_add_f64 v[100:101], v[120:121], v[100:101]
	v_fma_f64 v[120:121], v[130:131], s[22:23], -v[124:125]
	v_add_f64 v[124:125], v[112:113], v[114:115]
	v_add_f64 v[112:113], v[112:113], -v[114:115]
	v_add_f64 v[158:159], v[158:159], v[166:167]
	v_add_f64 v[156:157], v[156:157], v[164:165]
	;; [unrolled: 1-line block ×5, first 2 shown]
	v_mul_f64 v[114:115], v[112:113], s[20:21]
	v_add_f64 v[116:117], v[116:117], -v[118:119]
	v_fma_f64 v[118:119], v[120:121], s[22:23], -v[114:115]
	v_fma_f64 v[114:115], v[120:121], s[22:23], v[114:115]
	v_add_f64 v[118:119], v[118:119], v[126:127]
	v_mul_f64 v[126:127], v[116:117], s[20:21]
	v_add_f64 v[114:115], v[114:115], v[122:123]
	v_fma_f64 v[122:123], v[124:125], s[22:23], -v[126:127]
	v_fma_f64 v[128:129], v[124:125], s[22:23], v[126:127]
	v_mul_f64 v[126:127], v[112:113], s[34:35]
	v_add_f64 v[122:123], v[122:123], v[132:133]
	v_mul_f64 v[132:133], v[116:117], s[34:35]
	v_add_f64 v[128:129], v[128:129], v[136:137]
	v_fma_f64 v[130:131], v[120:121], s[2:3], -v[126:127]
	v_fma_f64 v[126:127], v[120:121], s[2:3], v[126:127]
	v_fma_f64 v[136:137], v[124:125], s[2:3], v[132:133]
	v_fma_f64 v[132:133], v[124:125], s[2:3], -v[132:133]
	v_add_f64 v[130:131], v[130:131], v[138:139]
	v_add_f64 v[126:127], v[126:127], v[134:135]
	;; [unrolled: 1-line block ×4, first 2 shown]
	v_mul_f64 v[132:133], v[112:113], s[28:29]
	v_add_f64 v[142:143], v[108:109], v[110:111]
	v_add_f64 v[140:141], v[104:105], v[106:107]
	v_fma_f64 v[134:135], v[120:121], s[18:19], -v[132:133]
	v_fma_f64 v[132:133], v[120:121], s[18:19], v[132:133]
	v_add_f64 v[146:147], v[134:135], v[146:147]
	v_mul_f64 v[134:135], v[116:117], s[28:29]
	v_add_f64 v[168:169], v[132:133], v[144:145]
	v_add_f64 v[144:145], v[108:109], -v[110:111]
	v_fma_f64 v[132:133], v[124:125], s[18:19], -v[134:135]
	v_fma_f64 v[136:137], v[124:125], s[18:19], v[134:135]
	v_add_f64 v[148:149], v[132:133], v[148:149]
	v_mul_f64 v[132:133], v[112:113], s[26:27]
	v_mul_f64 v[112:113], v[112:113], s[10:11]
	v_add_f64 v[150:151], v[136:137], v[150:151]
	v_fma_f64 v[134:135], v[120:121], s[24:25], -v[132:133]
	v_fma_f64 v[132:133], v[120:121], s[24:25], v[132:133]
	v_add_f64 v[154:155], v[134:135], v[154:155]
	v_mul_f64 v[134:135], v[116:117], s[26:27]
	v_add_f64 v[152:153], v[132:133], v[152:153]
	v_mul_f64 v[116:117], v[116:117], s[10:11]
	v_fma_f64 v[132:133], v[124:125], s[24:25], -v[134:135]
	v_fma_f64 v[136:137], v[124:125], s[24:25], v[134:135]
	v_fma_f64 v[134:135], v[124:125], s[16:17], v[116:117]
	v_add_f64 v[156:157], v[132:133], v[156:157]
	v_fma_f64 v[132:133], v[120:121], s[16:17], -v[112:113]
	v_fma_f64 v[112:113], v[120:121], s[16:17], v[112:113]
	v_add_f64 v[158:159], v[136:137], v[158:159]
	v_add_f64 v[134:135], v[134:135], v[162:163]
	;; [unrolled: 1-line block ×3, first 2 shown]
	v_add_f64 v[160:161], v[104:105], -v[106:107]
	v_add_f64 v[136:137], v[112:113], v[100:101]
	v_fma_f64 v[100:101], v[124:125], s[16:17], -v[116:117]
	v_mul_f64 v[108:109], v[160:161], s[30:31]
	v_add_f64 v[138:139], v[100:101], v[102:103]
	v_mul_f64 v[100:101], v[160:161], s[26:27]
	v_fma_f64 v[110:111], v[142:143], s[18:19], -v[108:109]
	v_fma_f64 v[108:109], v[142:143], s[18:19], v[108:109]
	v_fma_f64 v[102:103], v[142:143], s[24:25], -v[100:101]
	v_fma_f64 v[100:101], v[142:143], s[24:25], v[100:101]
	v_add_f64 v[116:117], v[110:111], v[130:131]
	v_mul_f64 v[110:111], v[144:145], s[30:31]
	v_add_f64 v[108:109], v[108:109], v[126:127]
	v_add_f64 v[104:105], v[102:103], v[118:119]
	v_mul_f64 v[102:103], v[144:145], s[26:27]
	v_add_f64 v[100:101], v[100:101], v[114:115]
	v_fma_f64 v[112:113], v[140:141], s[18:19], v[110:111]
	v_fma_f64 v[110:111], v[140:141], s[18:19], -v[110:111]
	v_fma_f64 v[106:107], v[140:141], s[24:25], v[102:103]
	v_fma_f64 v[102:103], v[140:141], s[24:25], -v[102:103]
	v_add_f64 v[118:119], v[112:113], v[164:165]
	v_mul_f64 v[112:113], v[160:161], s[20:21]
	v_add_f64 v[110:111], v[110:111], v[166:167]
	v_add_f64 v[106:107], v[106:107], v[128:129]
	;; [unrolled: 1-line block ×3, first 2 shown]
	v_fma_f64 v[114:115], v[142:143], s[22:23], -v[112:113]
	v_fma_f64 v[112:113], v[142:143], s[22:23], v[112:113]
	v_add_f64 v[128:129], v[114:115], v[146:147]
	v_mul_f64 v[114:115], v[144:145], s[20:21]
	v_mul_f64 v[146:147], v[160:161], s[8:9]
	v_add_f64 v[112:113], v[112:113], v[168:169]
	v_fma_f64 v[120:121], v[140:141], s[22:23], v[114:115]
	v_fma_f64 v[114:115], v[140:141], s[22:23], -v[114:115]
	v_add_f64 v[130:131], v[120:121], v[150:151]
	v_mul_f64 v[120:121], v[160:161], s[10:11]
	v_add_f64 v[114:115], v[114:115], v[148:149]
	v_fma_f64 v[148:149], v[142:143], s[2:3], -v[146:147]
	v_fma_f64 v[122:123], v[142:143], s[16:17], -v[120:121]
	v_fma_f64 v[120:121], v[142:143], s[16:17], v[120:121]
	v_add_f64 v[132:133], v[148:149], v[132:133]
	v_fma_f64 v[142:143], v[142:143], s[2:3], v[146:147]
	v_add_f64 v[124:125], v[122:123], v[154:155]
	v_mul_f64 v[122:123], v[144:145], s[10:11]
	v_mul_f64 v[144:145], v[144:145], s[8:9]
	v_add_f64 v[120:121], v[120:121], v[152:153]
	v_add_f64 v[136:137], v[142:143], v[136:137]
	s_waitcnt vmcnt(0)
	v_lshl_add_u32 v152, v0, 4, v1
	v_fma_f64 v[126:127], v[140:141], s[16:17], v[122:123]
	v_fma_f64 v[122:123], v[140:141], s[16:17], -v[122:123]
	v_fma_f64 v[148:149], v[140:141], s[2:3], v[144:145]
	v_fma_f64 v[140:141], v[140:141], s[2:3], -v[144:145]
	v_add_f64 v[126:127], v[126:127], v[158:159]
	v_add_f64 v[122:123], v[122:123], v[156:157]
	v_add_f64 v[134:135], v[148:149], v[134:135]
	v_add_f64 v[138:139], v[140:141], v[138:139]
	ds_write_b128 v152, v[96:99]
	ds_write_b128 v152, v[104:107] offset:816
	ds_write_b128 v152, v[116:119] offset:1632
	;; [unrolled: 1-line block ×10, first 2 shown]
	s_waitcnt lgkmcnt(0)
	s_barrier
	buffer_gl0_inv
	s_and_saveexec_b32 s2, vcc_lo
	s_cbranch_execz .LBB0_13
; %bb.12:
	buffer_load_dword v0, off, s[60:63], 0  ; 4-byte Folded Reload
	ds_read_b128 v[142:145], v152
	s_waitcnt vmcnt(0)
	v_lshlrev_b32_e32 v0, 4, v0
	v_add_co_u32 v141, s1, s12, v0
	v_add_co_ci_u32_e64 v140, null, s13, 0, s1
	v_add_co_u32 v150, s1, 0x2310, v141
	v_add_co_ci_u32_e64 v151, s1, 0, v140, s1
	v_add_co_u32 v146, s1, 0x2000, v141
	v_add_co_ci_u32_e64 v147, s1, 0, v140, s1
	global_load_dwordx4 v[146:149], v[146:147], off offset:784
	s_waitcnt vmcnt(0) lgkmcnt(0)
	v_mul_f64 v[153:154], v[144:145], v[148:149]
	v_fma_f64 v[153:154], v[142:143], v[146:147], -v[153:154]
	v_mul_f64 v[142:143], v[142:143], v[148:149]
	v_fma_f64 v[155:156], v[144:145], v[146:147], v[142:143]
	global_load_dwordx4 v[146:149], v[150:151], off offset:528
	ds_read_b128 v[142:145], v152 offset:528
	ds_write_b128 v152, v[153:156]
	s_waitcnt vmcnt(0) lgkmcnt(1)
	v_mul_f64 v[153:154], v[144:145], v[148:149]
	v_fma_f64 v[153:154], v[142:143], v[146:147], -v[153:154]
	v_mul_f64 v[142:143], v[142:143], v[148:149]
	v_fma_f64 v[155:156], v[144:145], v[146:147], v[142:143]
	global_load_dwordx4 v[146:149], v[150:151], off offset:1056
	ds_read_b128 v[142:145], v152 offset:1056
	ds_write_b128 v152, v[153:156] offset:528
	s_waitcnt vmcnt(0) lgkmcnt(1)
	v_mul_f64 v[153:154], v[144:145], v[148:149]
	v_fma_f64 v[153:154], v[142:143], v[146:147], -v[153:154]
	v_mul_f64 v[142:143], v[142:143], v[148:149]
	v_fma_f64 v[155:156], v[144:145], v[146:147], v[142:143]
	global_load_dwordx4 v[146:149], v[150:151], off offset:1584
	ds_read_b128 v[142:145], v152 offset:1584
	ds_write_b128 v152, v[153:156] offset:1056
	s_waitcnt vmcnt(0) lgkmcnt(1)
	v_mul_f64 v[150:151], v[144:145], v[148:149]
	v_fma_f64 v[153:154], v[142:143], v[146:147], -v[150:151]
	v_mul_f64 v[142:143], v[142:143], v[148:149]
	v_add_co_u32 v150, s1, 0x2800, v141
	v_add_co_ci_u32_e64 v151, s1, 0, v140, s1
	v_fma_f64 v[155:156], v[144:145], v[146:147], v[142:143]
	global_load_dwordx4 v[146:149], v[150:151], off offset:848
	ds_read_b128 v[142:145], v152 offset:2112
	ds_write_b128 v152, v[153:156] offset:1584
	s_waitcnt vmcnt(0) lgkmcnt(1)
	v_mul_f64 v[153:154], v[144:145], v[148:149]
	v_fma_f64 v[153:154], v[142:143], v[146:147], -v[153:154]
	v_mul_f64 v[142:143], v[142:143], v[148:149]
	v_fma_f64 v[155:156], v[144:145], v[146:147], v[142:143]
	global_load_dwordx4 v[146:149], v[150:151], off offset:1376
	ds_read_b128 v[142:145], v152 offset:2640
	ds_write_b128 v152, v[153:156] offset:2112
	s_waitcnt vmcnt(0) lgkmcnt(1)
	v_mul_f64 v[153:154], v[144:145], v[148:149]
	v_fma_f64 v[153:154], v[142:143], v[146:147], -v[153:154]
	v_mul_f64 v[142:143], v[142:143], v[148:149]
	v_fma_f64 v[155:156], v[144:145], v[146:147], v[142:143]
	global_load_dwordx4 v[146:149], v[150:151], off offset:1904
	ds_read_b128 v[142:145], v152 offset:3168
	ds_write_b128 v152, v[153:156] offset:2640
	s_waitcnt vmcnt(0) lgkmcnt(1)
	v_mul_f64 v[150:151], v[144:145], v[148:149]
	v_fma_f64 v[153:154], v[142:143], v[146:147], -v[150:151]
	v_mul_f64 v[142:143], v[142:143], v[148:149]
	v_add_co_u32 v150, s1, 0x3000, v141
	v_add_co_ci_u32_e64 v151, s1, 0, v140, s1
	v_fma_f64 v[155:156], v[144:145], v[146:147], v[142:143]
	global_load_dwordx4 v[146:149], v[150:151], off offset:384
	ds_read_b128 v[142:145], v152 offset:3696
	ds_write_b128 v152, v[153:156] offset:3168
	s_waitcnt vmcnt(0) lgkmcnt(1)
	v_mul_f64 v[153:154], v[144:145], v[148:149]
	v_fma_f64 v[153:154], v[142:143], v[146:147], -v[153:154]
	v_mul_f64 v[142:143], v[142:143], v[148:149]
	v_fma_f64 v[155:156], v[144:145], v[146:147], v[142:143]
	global_load_dwordx4 v[146:149], v[150:151], off offset:912
	ds_read_b128 v[142:145], v152 offset:4224
	ds_write_b128 v152, v[153:156] offset:3696
	s_waitcnt vmcnt(0) lgkmcnt(1)
	v_mul_f64 v[153:154], v[144:145], v[148:149]
	v_fma_f64 v[153:154], v[142:143], v[146:147], -v[153:154]
	v_mul_f64 v[142:143], v[142:143], v[148:149]
	v_fma_f64 v[155:156], v[144:145], v[146:147], v[142:143]
	global_load_dwordx4 v[146:149], v[150:151], off offset:1440
	ds_read_b128 v[142:145], v152 offset:4752
	ds_write_b128 v152, v[153:156] offset:4224
	s_waitcnt vmcnt(0) lgkmcnt(1)
	v_mul_f64 v[153:154], v[144:145], v[148:149]
	v_fma_f64 v[153:154], v[142:143], v[146:147], -v[153:154]
	v_mul_f64 v[142:143], v[142:143], v[148:149]
	v_fma_f64 v[155:156], v[144:145], v[146:147], v[142:143]
	global_load_dwordx4 v[146:149], v[150:151], off offset:1968
	ds_read_b128 v[142:145], v152 offset:5280
	ds_write_b128 v152, v[153:156] offset:4752
	s_waitcnt vmcnt(0) lgkmcnt(1)
	v_mul_f64 v[150:151], v[144:145], v[148:149]
	v_fma_f64 v[153:154], v[142:143], v[146:147], -v[150:151]
	v_mul_f64 v[142:143], v[142:143], v[148:149]
	v_add_co_u32 v150, s1, 0x3800, v141
	v_add_co_ci_u32_e64 v151, s1, 0, v140, s1
	v_fma_f64 v[155:156], v[144:145], v[146:147], v[142:143]
	global_load_dwordx4 v[146:149], v[150:151], off offset:448
	ds_read_b128 v[142:145], v152 offset:5808
	ds_write_b128 v152, v[153:156] offset:5280
	s_waitcnt vmcnt(0) lgkmcnt(1)
	v_mul_f64 v[153:154], v[144:145], v[148:149]
	v_fma_f64 v[153:154], v[142:143], v[146:147], -v[153:154]
	v_mul_f64 v[142:143], v[142:143], v[148:149]
	;; [unrolled: 34-line block ×3, first 2 shown]
	v_fma_f64 v[142:143], v[144:145], v[146:147], v[142:143]
	global_load_dwordx4 v[144:147], v[150:151], off offset:1040
	ds_write_b128 v152, v[140:143] offset:7920
	ds_read_b128 v[140:143], v152 offset:8448
	s_waitcnt vmcnt(0) lgkmcnt(0)
	v_mul_f64 v[148:149], v[142:143], v[146:147]
	v_fma_f64 v[148:149], v[140:141], v[144:145], -v[148:149]
	v_mul_f64 v[140:141], v[140:141], v[146:147]
	v_fma_f64 v[150:151], v[142:143], v[144:145], v[140:141]
	ds_write_b128 v152, v[148:151] offset:8448
.LBB0_13:
	s_or_b32 exec_lo, exec_lo, s2
	s_waitcnt lgkmcnt(0)
	s_barrier
	buffer_gl0_inv
	s_and_saveexec_b32 s1, vcc_lo
	s_cbranch_execz .LBB0_15
; %bb.14:
	ds_read_b128 v[96:99], v152
	ds_read_b128 v[104:107], v152 offset:528
	ds_read_b128 v[116:119], v152 offset:1056
	;; [unrolled: 1-line block ×16, first 2 shown]
.LBB0_15:
	s_or_b32 exec_lo, exec_lo, s1
	s_waitcnt lgkmcnt(4)
	v_add_f64 v[179:180], v[134:135], v[18:19]
	s_mov_b32 s30, 0x3259b75e
	s_mov_b32 s31, 0x3fb79ee6
	s_waitcnt lgkmcnt(0)
	v_add_f64 v[213:214], v[106:107], -v[22:23]
	v_add_f64 v[219:220], v[106:107], v[22:23]
	s_mov_b32 s2, 0x6c9a05f6
	s_mov_b32 s8, 0x6ed5f1bb
	;; [unrolled: 1-line block ×4, first 2 shown]
	v_add_f64 v[209:210], v[104:105], v[20:21]
	v_add_f64 v[155:156], v[118:119], -v[6:7]
	v_add_f64 v[221:222], v[104:105], -v[20:21]
	v_add_f64 v[157:158], v[118:119], v[6:7]
	s_mov_b32 s16, 0x923c349f
	s_mov_b32 s20, 0xc61f0d01
	;; [unrolled: 1-line block ×4, first 2 shown]
	v_add_f64 v[153:154], v[116:117], v[4:5]
	v_add_f64 v[159:160], v[130:131], -v[10:11]
	v_add_f64 v[165:166], v[116:117], -v[4:5]
	v_add_f64 v[163:164], v[130:131], v[10:11]
	s_mov_b32 s10, 0x5d8e7cdc
	v_mul_f64 v[0:1], v[179:180], s[30:31]
	s_mov_b32 s18, 0x370991
	s_mov_b32 s11, 0x3fd71e95
	v_mul_f64 v[241:242], v[213:214], s[2:3]
	v_mul_f64 v[251:252], v[219:220], s[8:9]
	s_mov_b32 s29, 0xbfd71e95
	s_mov_b32 s28, s10
	;; [unrolled: 1-line block ×3, first 2 shown]
	v_add_f64 v[161:162], v[128:129], v[8:9]
	v_add_f64 v[169:170], v[126:127], -v[14:15]
	v_mul_f64 v[2:3], v[155:156], s[16:17]
	v_add_f64 v[171:172], v[128:129], -v[8:9]
	v_mul_f64 v[239:240], v[157:158], s[20:21]
	v_add_f64 v[173:174], v[126:127], v[14:15]
	s_mov_b32 s24, 0x4363dd80
	s_mov_b32 s22, 0x910ea3b9
	;; [unrolled: 1-line block ×4, first 2 shown]
	v_mul_f64 v[237:238], v[159:160], s[28:29]
	v_add_f64 v[167:168], v[124:125], v[12:13]
	v_mul_f64 v[245:246], v[163:164], s[18:19]
	v_add_f64 v[175:176], v[124:125], -v[12:13]
	buffer_store_dword v0, off, s[60:63], 0 offset:16 ; 4-byte Folded Spill
	buffer_store_dword v1, off, s[60:63], 0 offset:20 ; 4-byte Folded Spill
	v_add_f64 v[181:182], v[134:135], -v[18:19]
	s_mov_b32 s38, 0xeb564b22
	v_fma_f64 v[140:141], v[209:210], s[8:9], -v[241:242]
	v_fma_f64 v[142:143], v[221:222], s[2:3], v[251:252]
	s_mov_b32 s39, 0xbfefdd0d
	s_mov_b32 s49, 0x3fefdd0d
	;; [unrolled: 1-line block ×3, first 2 shown]
	v_add_f64 v[177:178], v[132:133], v[16:17]
	v_mul_f64 v[243:244], v[169:170], s[24:25]
	v_fma_f64 v[144:145], v[153:154], s[20:21], -v[2:3]
	v_add_f64 v[191:192], v[132:133], -v[16:17]
	v_fma_f64 v[146:147], v[165:166], s[16:17], v[239:240]
	v_mul_f64 v[247:248], v[173:174], s[22:23]
	v_add_f64 v[193:194], v[138:139], -v[94:95]
	s_mov_b32 s36, 0x2a9d6da3
	s_mov_b32 s37, 0x3fe58eea
	;; [unrolled: 1-line block ×3, first 2 shown]
	v_fma_f64 v[148:149], v[161:162], s[18:19], -v[237:238]
	s_mov_b32 s46, s36
	v_add_f64 v[183:184], v[136:137], v[92:93]
	v_add_f64 v[189:190], v[138:139], v[94:95]
	s_mov_b32 s26, 0x75d4884
	v_mul_f64 v[249:250], v[181:182], s[48:49]
	s_mov_b32 s27, 0x3fe7a5f6
	v_add_f64 v[140:141], v[96:97], v[140:141]
	v_add_f64 v[142:143], v[98:99], v[142:143]
	v_add_f64 v[201:202], v[136:137], -v[92:93]
	v_add_f64 v[197:198], v[122:123], -v[102:103]
	s_mov_b32 s40, 0xacd6c6b4
	s_mov_b32 s41, 0xbfc7851a
	v_add_f64 v[185:186], v[120:121], v[100:101]
	v_add_f64 v[199:200], v[122:123], v[102:103]
	s_mov_b32 s34, 0x7faef3
	s_mov_b32 s35, 0xbfef7484
	v_add_f64 v[205:206], v[120:121], -v[100:101]
	v_add_f64 v[203:204], v[114:115], -v[110:111]
	s_mov_b32 s44, 0x7c9e640b
	s_mov_b32 s45, 0x3feca52d
	v_add_f64 v[187:188], v[112:113], v[108:109]
	v_add_f64 v[195:196], v[114:115], v[110:111]
	s_mov_b32 s42, 0x2b2883cd
	s_mov_b32 s43, 0x3fdc86fa
	v_add_f64 v[211:212], v[112:113], -v[108:109]
	v_mul_f64 v[225:226], v[213:214], s[24:25]
	v_mul_f64 v[229:230], v[219:220], s[22:23]
	s_mov_b32 s53, 0x3fe9895b
	v_add_f64 v[140:141], v[144:145], v[140:141]
	v_add_f64 v[142:143], v[146:147], v[142:143]
	v_fma_f64 v[144:145], v[171:172], s[28:29], v[245:246]
	v_fma_f64 v[146:147], v[167:168], s[22:23], -v[243:244]
	s_mov_b32 s52, s2
	s_mov_b32 s51, 0xbfeec746
	;; [unrolled: 1-line block ×3, first 2 shown]
	v_mul_f64 v[233:234], v[213:214], s[40:41]
	v_mul_f64 v[235:236], v[219:220], s[34:35]
	;; [unrolled: 1-line block ×6, first 2 shown]
	v_add_f64 v[140:141], v[148:149], v[140:141]
	v_add_f64 v[142:143], v[144:145], v[142:143]
	v_fma_f64 v[144:145], v[175:176], s[24:25], v[247:248]
	v_add_f64 v[140:141], v[146:147], v[140:141]
	v_add_f64 v[142:143], v[144:145], v[142:143]
	v_fma_f64 v[144:145], v[177:178], s[30:31], -v[249:250]
	v_add_f64 v[140:141], v[144:145], v[140:141]
	v_fma_f64 v[144:145], v[191:192], s[48:49], v[0:1]
	v_mul_f64 v[0:1], v[193:194], s[46:47]
	buffer_store_dword v0, off, s[60:63], 0 offset:92 ; 4-byte Folded Spill
	buffer_store_dword v1, off, s[60:63], 0 offset:96 ; 4-byte Folded Spill
	v_add_f64 v[142:143], v[144:145], v[142:143]
	v_fma_f64 v[144:145], v[183:184], s[26:27], -v[0:1]
	v_mul_f64 v[0:1], v[189:190], s[26:27]
	buffer_store_dword v0, off, s[60:63], 0 offset:100 ; 4-byte Folded Spill
	buffer_store_dword v1, off, s[60:63], 0 offset:104 ; 4-byte Folded Spill
	v_add_f64 v[140:141], v[144:145], v[140:141]
	v_fma_f64 v[144:145], v[201:202], s[46:47], v[0:1]
	v_mul_f64 v[0:1], v[197:198], s[40:41]
	buffer_store_dword v0, off, s[60:63], 0 offset:108 ; 4-byte Folded Spill
	buffer_store_dword v1, off, s[60:63], 0 offset:112 ; 4-byte Folded Spill
	v_add_f64 v[142:143], v[144:145], v[142:143]
	v_fma_f64 v[144:145], v[185:186], s[34:35], -v[0:1]
	v_mul_f64 v[0:1], v[199:200], s[34:35]
	buffer_store_dword v0, off, s[60:63], 0 offset:116 ; 4-byte Folded Spill
	buffer_store_dword v1, off, s[60:63], 0 offset:120 ; 4-byte Folded Spill
	;; [unrolled: 10-line block ×3, first 2 shown]
	v_add_f64 v[140:141], v[144:145], v[140:141]
	v_fma_f64 v[144:145], v[211:212], s[44:45], v[0:1]
	v_mul_f64 v[0:1], v[155:156], s[44:45]
	buffer_store_dword v0, off, s[60:63], 0 offset:140 ; 4-byte Folded Spill
	buffer_store_dword v1, off, s[60:63], 0 offset:144 ; 4-byte Folded Spill
	v_add_f64 v[142:143], v[144:145], v[142:143]
	v_fma_f64 v[144:145], v[209:210], s[22:23], -v[225:226]
	v_add_f64 v[144:145], v[96:97], v[144:145]
	v_fma_f64 v[146:147], v[153:154], s[42:43], -v[0:1]
	v_mul_f64 v[0:1], v[157:158], s[42:43]
	buffer_store_dword v0, off, s[60:63], 0 offset:164 ; 4-byte Folded Spill
	buffer_store_dword v1, off, s[60:63], 0 offset:168 ; 4-byte Folded Spill
	v_add_f64 v[144:145], v[146:147], v[144:145]
	v_fma_f64 v[146:147], v[221:222], s[24:25], v[229:230]
	v_add_f64 v[146:147], v[98:99], v[146:147]
	v_fma_f64 v[148:149], v[165:166], s[44:45], v[0:1]
	v_mul_f64 v[0:1], v[159:160], s[38:39]
	buffer_store_dword v0, off, s[60:63], 0 offset:148 ; 4-byte Folded Spill
	buffer_store_dword v1, off, s[60:63], 0 offset:152 ; 4-byte Folded Spill
	v_add_f64 v[146:147], v[148:149], v[146:147]
	v_fma_f64 v[148:149], v[161:162], s[30:31], -v[0:1]
	v_mul_f64 v[0:1], v[163:164], s[30:31]
	buffer_store_dword v0, off, s[60:63], 0 offset:172 ; 4-byte Folded Spill
	buffer_store_dword v1, off, s[60:63], 0 offset:176 ; 4-byte Folded Spill
	v_add_f64 v[144:145], v[148:149], v[144:145]
	v_fma_f64 v[148:149], v[171:172], s[38:39], v[0:1]
	v_mul_f64 v[0:1], v[169:170], s[52:53]
	buffer_store_dword v0, off, s[60:63], 0 offset:156 ; 4-byte Folded Spill
	buffer_store_dword v1, off, s[60:63], 0 offset:160 ; 4-byte Folded Spill
	v_add_f64 v[146:147], v[148:149], v[146:147]
	v_fma_f64 v[148:149], v[167:168], s[8:9], -v[0:1]
	v_mul_f64 v[0:1], v[173:174], s[8:9]
	buffer_store_dword v0, off, s[60:63], 0 offset:212 ; 4-byte Folded Spill
	buffer_store_dword v1, off, s[60:63], 0 offset:216 ; 4-byte Folded Spill
	;; [unrolled: 10-line block ×6, first 2 shown]
	v_add_f64 v[144:145], v[148:149], v[144:145]
	v_fma_f64 v[148:149], v[211:212], s[50:51], v[0:1]
	v_mul_f64 v[0:1], v[155:156], s[10:11]
	buffer_store_dword v0, off, s[60:63], 0 offset:252 ; 4-byte Folded Spill
	buffer_store_dword v1, off, s[60:63], 0 offset:256 ; 4-byte Folded Spill
	v_add_f64 v[146:147], v[148:149], v[146:147]
	v_fma_f64 v[148:149], v[209:210], s[34:35], -v[233:234]
	v_add_f64 v[148:149], v[96:97], v[148:149]
	v_fma_f64 v[150:151], v[153:154], s[18:19], -v[0:1]
	v_mul_f64 v[0:1], v[157:158], s[18:19]
	buffer_store_dword v0, off, s[60:63], 0 offset:276 ; 4-byte Folded Spill
	buffer_store_dword v1, off, s[60:63], 0 offset:280 ; 4-byte Folded Spill
	v_add_f64 v[148:149], v[150:151], v[148:149]
	v_fma_f64 v[150:151], v[221:222], s[40:41], v[235:236]
	v_add_f64 v[150:151], v[98:99], v[150:151]
	v_fma_f64 v[207:208], v[165:166], s[10:11], v[0:1]
	v_mul_f64 v[0:1], v[159:160], s[24:25]
	buffer_store_dword v0, off, s[60:63], 0 offset:260 ; 4-byte Folded Spill
	buffer_store_dword v1, off, s[60:63], 0 offset:264 ; 4-byte Folded Spill
	v_add_f64 v[150:151], v[207:208], v[150:151]
	v_fma_f64 v[207:208], v[161:162], s[22:23], -v[0:1]
	v_mul_f64 v[0:1], v[163:164], s[22:23]
	buffer_store_dword v0, off, s[60:63], 0 offset:292 ; 4-byte Folded Spill
	buffer_store_dword v1, off, s[60:63], 0 offset:296 ; 4-byte Folded Spill
	v_add_f64 v[148:149], v[207:208], v[148:149]
	v_fma_f64 v[207:208], v[171:172], s[24:25], v[0:1]
	v_mul_f64 v[0:1], v[169:170], s[36:37]
	buffer_store_dword v0, off, s[60:63], 0 offset:268 ; 4-byte Folded Spill
	buffer_store_dword v1, off, s[60:63], 0 offset:272 ; 4-byte Folded Spill
	v_add_f64 v[150:151], v[207:208], v[150:151]
	v_fma_f64 v[207:208], v[167:168], s[26:27], -v[0:1]
	v_mul_f64 v[0:1], v[181:182], s[2:3]
	buffer_store_dword v0, off, s[60:63], 0 offset:284 ; 4-byte Folded Spill
	buffer_store_dword v1, off, s[60:63], 0 offset:288 ; 4-byte Folded Spill
	v_add_f64 v[148:149], v[207:208], v[148:149]
	v_mul_f64 v[207:208], v[173:174], s[26:27]
	v_fma_f64 v[215:216], v[175:176], s[36:37], v[207:208]
	v_add_f64 v[150:151], v[215:216], v[150:151]
	v_fma_f64 v[215:216], v[177:178], s[8:9], -v[0:1]
	v_mul_f64 v[0:1], v[197:198], s[50:51]
	buffer_store_dword v0, off, s[60:63], 0 offset:300 ; 4-byte Folded Spill
	buffer_store_dword v1, off, s[60:63], 0 offset:304 ; 4-byte Folded Spill
	v_add_f64 v[148:149], v[215:216], v[148:149]
	v_fma_f64 v[215:216], v[191:192], s[2:3], v[217:218]
	s_waitcnt_vscnt null, 0x0
	s_barrier
	buffer_gl0_inv
	v_add_f64 v[150:151], v[215:216], v[150:151]
	v_mul_f64 v[215:216], v[193:194], s[44:45]
	v_fma_f64 v[223:224], v[183:184], s[42:43], -v[215:216]
	v_add_f64 v[148:149], v[223:224], v[148:149]
	v_fma_f64 v[223:224], v[201:202], s[44:45], v[227:228]
	v_add_f64 v[150:151], v[223:224], v[150:151]
	v_fma_f64 v[223:224], v[185:186], s[20:21], -v[0:1]
	v_add_f64 v[148:149], v[223:224], v[148:149]
	v_fma_f64 v[223:224], v[205:206], s[50:51], v[231:232]
	v_add_f64 v[150:151], v[223:224], v[150:151]
	v_fma_f64 v[223:224], v[187:188], s[30:31], -v[253:254]
	v_add_f64 v[148:149], v[223:224], v[148:149]
	v_mul_f64 v[223:224], v[195:196], s[30:31]
	v_fma_f64 v[0:1], v[211:212], s[48:49], v[223:224]
	v_add_f64 v[150:151], v[0:1], v[150:151]
	s_and_saveexec_b32 s1, vcc_lo
	s_cbranch_execz .LBB0_17
; %bb.16:
	v_add_f64 v[0:1], v[98:99], v[106:107]
	v_mov_b32_e32 v106, v251
	v_mov_b32_e32 v107, v252
	;; [unrolled: 1-line block ×10, first 2 shown]
	v_add_f64 v[2:3], v[96:97], v[104:105]
	s_mov_b32 s55, 0xbfeca52d
	s_mov_b32 s54, s44
	v_mul_f64 v[104:105], v[221:222], s[2:3]
	s_mov_b32 s57, 0x3fe0d888
	s_mov_b32 s56, s24
	v_add_f64 v[0:1], v[0:1], v[118:119]
	v_add_f64 v[2:3], v[2:3], v[116:117]
	v_mul_f64 v[116:117], v[221:222], s[54:55]
	v_add_f64 v[104:105], v[106:107], -v[104:105]
	v_mul_f64 v[106:107], v[209:210], s[8:9]
	v_add_f64 v[0:1], v[0:1], v[130:131]
	v_mul_f64 v[130:131], v[213:214], s[38:39]
	v_add_f64 v[2:3], v[2:3], v[128:129]
	;; [unrolled: 2-line block ×3, first 2 shown]
	v_add_f64 v[106:107], v[106:107], v[241:242]
	v_add_f64 v[0:1], v[0:1], v[126:127]
	v_fma_f64 v[126:127], v[219:220], s[42:43], v[116:117]
	v_fma_f64 v[116:117], v[219:220], s[42:43], -v[116:117]
	v_add_f64 v[2:3], v[2:3], v[124:125]
	v_add_f64 v[106:107], v[96:97], v[106:107]
	;; [unrolled: 1-line block ×3, first 2 shown]
	v_mul_f64 v[134:135], v[213:214], s[28:29]
	v_add_f64 v[126:127], v[98:99], v[126:127]
	v_add_f64 v[2:3], v[2:3], v[132:133]
	v_mul_f64 v[132:133], v[213:214], s[46:47]
	v_add_f64 v[0:1], v[0:1], v[138:139]
	v_fma_f64 v[138:139], v[209:210], s[20:21], -v[128:129]
	v_fma_f64 v[128:129], v[209:210], s[20:21], v[128:129]
	v_add_f64 v[2:3], v[2:3], v[136:137]
	v_mul_f64 v[136:137], v[213:214], s[54:55]
	v_fma_f64 v[213:214], v[209:210], s[30:31], -v[130:131]
	v_fma_f64 v[130:131], v[209:210], s[30:31], v[130:131]
	v_add_f64 v[0:1], v[0:1], v[122:123]
	v_add_f64 v[138:139], v[96:97], v[138:139]
	;; [unrolled: 1-line block ×6, first 2 shown]
	v_mul_f64 v[114:115], v[221:222], s[28:29]
	v_add_f64 v[2:3], v[2:3], v[112:113]
	v_mul_f64 v[112:113], v[221:222], s[46:47]
	v_add_f64 v[0:1], v[0:1], v[110:111]
	v_mul_f64 v[110:111], v[221:222], s[38:39]
	v_fma_f64 v[124:125], v[219:220], s[18:19], -v[114:115]
	v_fma_f64 v[114:115], v[219:220], s[18:19], v[114:115]
	v_add_f64 v[2:3], v[2:3], v[108:109]
	v_mul_f64 v[108:109], v[221:222], s[50:51]
	v_fma_f64 v[122:123], v[219:220], s[26:27], -v[112:113]
	v_fma_f64 v[112:113], v[219:220], s[26:27], v[112:113]
	v_add_f64 v[0:1], v[0:1], v[102:103]
	v_fma_f64 v[120:121], v[219:220], s[30:31], v[110:111]
	v_fma_f64 v[110:111], v[219:220], s[30:31], -v[110:111]
	v_mul_f64 v[102:103], v[209:210], s[22:23]
	v_add_f64 v[124:125], v[98:99], v[124:125]
	v_add_f64 v[114:115], v[98:99], v[114:115]
	;; [unrolled: 1-line block ×3, first 2 shown]
	v_mul_f64 v[100:101], v[221:222], s[24:25]
	v_fma_f64 v[118:119], v[219:220], s[20:21], -v[108:109]
	v_fma_f64 v[108:109], v[219:220], s[20:21], v[108:109]
	v_add_f64 v[122:123], v[98:99], v[122:123]
	v_add_f64 v[112:113], v[98:99], v[112:113]
	v_fma_f64 v[219:220], v[209:210], s[26:27], v[132:133]
	v_fma_f64 v[132:133], v[209:210], s[26:27], -v[132:133]
	v_add_f64 v[0:1], v[0:1], v[94:95]
	v_add_f64 v[120:121], v[98:99], v[120:121]
	v_add_f64 v[110:111], v[98:99], v[110:111]
	v_add_f64 v[102:103], v[102:103], v[225:226]
	v_fma_f64 v[225:226], v[209:210], s[42:43], -v[136:137]
	v_mul_f64 v[94:95], v[209:210], s[34:35]
	v_fma_f64 v[136:137], v[209:210], s[42:43], v[136:137]
	v_add_f64 v[2:3], v[2:3], v[92:93]
	v_mul_f64 v[92:93], v[221:222], s[40:41]
	v_add_f64 v[100:101], v[229:230], -v[100:101]
	v_add_f64 v[118:119], v[98:99], v[118:119]
	v_add_f64 v[108:109], v[98:99], v[108:109]
	v_fma_f64 v[221:222], v[209:210], s[18:19], v[134:135]
	v_fma_f64 v[134:135], v[209:210], s[18:19], -v[134:135]
	v_add_f64 v[209:210], v[96:97], v[213:214]
	v_add_f64 v[219:220], v[96:97], v[219:220]
	;; [unrolled: 1-line block ×4, first 2 shown]
	v_mul_f64 v[18:19], v[201:202], s[44:45]
	v_add_f64 v[102:103], v[96:97], v[102:103]
	v_add_f64 v[94:95], v[94:95], v[233:234]
	;; [unrolled: 1-line block ×3, first 2 shown]
	v_add_f64 v[92:93], v[235:236], -v[92:93]
	v_add_f64 v[100:101], v[98:99], v[100:101]
	v_mul_f64 v[16:17], v[205:206], s[50:51]
	v_add_f64 v[213:214], v[96:97], v[221:222]
	v_add_f64 v[221:222], v[96:97], v[225:226]
	;; [unrolled: 1-line block ×4, first 2 shown]
	v_add_f64 v[18:19], v[227:228], -v[18:19]
	v_add_f64 v[94:95], v[96:97], v[94:95]
	v_add_f64 v[96:97], v[96:97], v[136:137]
	v_mul_f64 v[136:137], v[175:176], s[36:37]
	v_add_f64 v[2:3], v[2:3], v[12:13]
	v_add_f64 v[92:93], v[98:99], v[92:93]
	;; [unrolled: 1-line block ×3, first 2 shown]
	v_mul_f64 v[116:117], v[191:192], s[2:3]
	v_add_f64 v[16:17], v[231:232], -v[16:17]
	v_mul_f64 v[12:13], v[201:202], s[40:41]
	v_add_f64 v[0:1], v[0:1], v[10:11]
	v_mul_f64 v[10:11], v[153:154], s[20:21]
	v_add_f64 v[136:137], v[207:208], -v[136:137]
	v_mul_f64 v[207:208], v[171:172], s[24:25]
	v_add_f64 v[2:3], v[2:3], v[8:9]
	v_mul_f64 v[8:9], v[165:166], s[16:17]
	v_add_f64 v[116:117], v[217:218], -v[116:117]
	s_clause 0x7
	buffer_load_dword v217, off, s[60:63], 0 offset:292
	buffer_load_dword v218, off, s[60:63], 0 offset:296
	;; [unrolled: 1-line block ×8, first 2 shown]
	v_add_f64 v[0:1], v[0:1], v[6:7]
	v_add_f64 v[10:11], v[10:11], v[237:238]
	;; [unrolled: 1-line block ×3, first 2 shown]
	v_add_f64 v[8:9], v[239:240], -v[8:9]
	v_mul_f64 v[4:5], v[165:166], s[56:57]
	v_add_f64 v[10:11], v[10:11], v[106:107]
	v_add_f64 v[8:9], v[8:9], v[104:105]
	v_mul_f64 v[104:105], v[183:184], s[26:27]
	v_fma_f64 v[6:7], v[157:158], s[22:23], -v[4:5]
	v_fma_f64 v[4:5], v[157:158], s[22:23], v[4:5]
	v_add_f64 v[6:7], v[6:7], v[118:119]
	v_add_f64 v[4:5], v[4:5], v[108:109]
	v_mul_f64 v[108:109], v[165:166], s[2:3]
	s_waitcnt vmcnt(6)
	v_add_f64 v[207:208], v[217:218], -v[207:208]
	v_mul_f64 v[217:218], v[165:166], s[10:11]
	s_waitcnt vmcnt(4)
	v_add_f64 v[217:218], v[225:226], -v[217:218]
	v_mul_f64 v[225:226], v[183:184], s[42:43]
	v_add_f64 v[92:93], v[217:218], v[92:93]
	v_add_f64 v[215:216], v[225:226], v[215:216]
	v_mul_f64 v[225:226], v[153:154], s[18:19]
	v_mul_f64 v[217:218], v[167:168], s[26:27]
	v_add_f64 v[92:93], v[207:208], v[92:93]
	v_mul_f64 v[207:208], v[177:178], s[8:9]
	s_waitcnt vmcnt(2)
	v_add_f64 v[225:226], v[225:226], v[227:228]
	v_mul_f64 v[227:228], v[161:162], s[22:23]
	v_add_f64 v[92:93], v[136:137], v[92:93]
	v_mul_f64 v[136:137], v[185:186], s[20:21]
	v_add_f64 v[94:95], v[225:226], v[94:95]
	s_clause 0x1
	buffer_load_dword v225, off, s[60:63], 0 offset:268
	buffer_load_dword v226, off, s[60:63], 0 offset:272
	s_waitcnt vmcnt(2)
	v_add_f64 v[227:228], v[227:228], v[229:230]
	v_add_f64 v[92:93], v[116:117], v[92:93]
	v_mul_f64 v[116:117], v[211:212], s[48:49]
	v_add_f64 v[94:95], v[227:228], v[94:95]
	v_add_f64 v[18:19], v[18:19], v[92:93]
	v_add_f64 v[116:117], v[223:224], -v[116:117]
	v_add_f64 v[16:17], v[16:17], v[18:19]
	v_add_f64 v[18:19], v[116:117], v[16:17]
	s_waitcnt vmcnt(0)
	v_add_f64 v[217:218], v[217:218], v[225:226]
	s_clause 0x1
	buffer_load_dword v225, off, s[60:63], 0 offset:284
	buffer_load_dword v226, off, s[60:63], 0 offset:288
	v_add_f64 v[94:95], v[217:218], v[94:95]
	s_clause 0x3
	buffer_load_dword v217, off, s[60:63], 0 offset:300
	buffer_load_dword v218, off, s[60:63], 0 offset:304
	;; [unrolled: 1-line block ×4, first 2 shown]
	s_waitcnt vmcnt(4)
	v_add_f64 v[207:208], v[207:208], v[225:226]
	v_add_f64 v[94:95], v[207:208], v[94:95]
	s_waitcnt vmcnt(2)
	v_add_f64 v[136:137], v[136:137], v[217:218]
	s_waitcnt vmcnt(0)
	v_add_f64 v[12:13], v[14:15], -v[12:13]
	v_mul_f64 v[14:15], v[191:192], s[28:29]
	v_add_f64 v[92:93], v[215:216], v[94:95]
	v_mul_f64 v[94:95], v[187:188], s[30:31]
	v_add_f64 v[92:93], v[136:137], v[92:93]
	v_add_f64 v[94:95], v[94:95], v[253:254]
	;; [unrolled: 1-line block ×3, first 2 shown]
	s_clause 0xf
	buffer_load_dword v92, off, s[60:63], 0 offset:236
	buffer_load_dword v93, off, s[60:63], 0 offset:240
	;; [unrolled: 1-line block ×16, first 2 shown]
	s_waitcnt vmcnt(14)
	v_add_f64 v[14:15], v[92:93], -v[14:15]
	v_mul_f64 v[92:93], v[175:176], s[52:53]
	s_waitcnt vmcnt(12)
	v_add_f64 v[92:93], v[94:95], -v[92:93]
	v_mul_f64 v[94:95], v[171:172], s[38:39]
	;; [unrolled: 3-line block ×4, first 2 shown]
	v_add_f64 v[100:101], v[116:117], v[100:101]
	s_waitcnt vmcnt(6)
	v_add_f64 v[136:137], v[136:137], v[207:208]
	v_mul_f64 v[207:208], v[153:154], s[42:43]
	v_mul_f64 v[116:117], v[167:168], s[8:9]
	v_add_f64 v[94:95], v[94:95], v[100:101]
	s_waitcnt vmcnt(4)
	v_add_f64 v[207:208], v[207:208], v[215:216]
	v_mul_f64 v[215:216], v[177:178], s[18:19]
	v_add_f64 v[92:93], v[92:93], v[94:95]
	v_add_f64 v[102:103], v[207:208], v[102:103]
	s_clause 0x1
	buffer_load_dword v207, off, s[60:63], 0 offset:156
	buffer_load_dword v208, off, s[60:63], 0 offset:160
	s_waitcnt vmcnt(4)
	v_add_f64 v[215:216], v[215:216], v[217:218]
	v_mul_f64 v[217:218], v[161:162], s[30:31]
	v_add_f64 v[14:15], v[14:15], v[92:93]
	s_waitcnt vmcnt(2)
	v_add_f64 v[217:218], v[217:218], v[223:224]
	v_add_f64 v[12:13], v[12:13], v[14:15]
	;; [unrolled: 1-line block ×3, first 2 shown]
	v_mul_f64 v[102:103], v[205:206], s[36:37]
	s_waitcnt vmcnt(0)
	v_add_f64 v[116:117], v[116:117], v[207:208]
	s_clause 0x1
	buffer_load_dword v207, off, s[60:63], 0 offset:204
	buffer_load_dword v208, off, s[60:63], 0 offset:208
	v_add_f64 v[94:95], v[116:117], v[100:101]
	s_clause 0x1
	buffer_load_dword v116, off, s[60:63], 0 offset:180
	buffer_load_dword v117, off, s[60:63], 0 offset:184
	v_mul_f64 v[100:101], v[185:186], s[26:27]
	v_add_f64 v[92:93], v[215:216], v[94:95]
	v_mul_f64 v[94:95], v[211:212], s[50:51]
	v_add_f64 v[14:15], v[136:137], v[92:93]
	v_mul_f64 v[92:93], v[187:188], s[20:21]
	s_waitcnt vmcnt(2)
	v_add_f64 v[102:103], v[207:208], -v[102:103]
	v_mul_f64 v[207:208], v[201:202], s[46:47]
	s_waitcnt vmcnt(0)
	v_add_f64 v[100:101], v[100:101], v[116:117]
	s_clause 0x1
	buffer_load_dword v116, off, s[60:63], 0 offset:228
	buffer_load_dword v117, off, s[60:63], 0 offset:232
	v_add_f64 v[12:13], v[102:103], v[12:13]
	v_mul_f64 v[102:103], v[167:168], s[22:23]
	v_add_f64 v[100:101], v[100:101], v[14:15]
	v_add_f64 v[102:103], v[102:103], v[249:250]
	s_waitcnt vmcnt(0)
	v_add_f64 v[94:95], v[116:117], -v[94:95]
	s_clause 0x7
	buffer_load_dword v116, off, s[60:63], 0 offset:196
	buffer_load_dword v117, off, s[60:63], 0 offset:200
	;; [unrolled: 1-line block ×8, first 2 shown]
	v_add_f64 v[14:15], v[94:95], v[12:13]
	v_mul_f64 v[94:95], v[161:162], s[18:19]
	v_add_f64 v[94:95], v[94:95], v[243:244]
	v_add_f64 v[10:11], v[94:95], v[10:11]
	s_clause 0x1
	buffer_load_dword v94, off, s[60:63], 0 offset:116
	buffer_load_dword v95, off, s[60:63], 0 offset:120
	v_add_f64 v[10:11], v[102:103], v[10:11]
	s_waitcnt vmcnt(8)
	v_add_f64 v[92:93], v[92:93], v[116:117]
	v_mul_f64 v[116:117], v[191:192], s[48:49]
	s_waitcnt vmcnt(4)
	v_add_f64 v[207:208], v[215:216], -v[207:208]
	s_waitcnt vmcnt(2)
	v_add_f64 v[104:105], v[104:105], v[106:107]
	v_add_f64 v[12:13], v[92:93], v[100:101]
	v_mul_f64 v[92:93], v[171:172], s[28:29]
	v_mul_f64 v[100:101], v[175:176], s[24:25]
	v_add_f64 v[116:117], v[136:137], -v[116:117]
	v_mul_f64 v[136:137], v[177:178], s[30:31]
	v_add_f64 v[92:93], v[245:246], -v[92:93]
	v_add_f64 v[100:101], v[247:248], -v[100:101]
	v_add_f64 v[136:137], v[136:137], v[251:252]
	v_add_f64 v[8:9], v[92:93], v[8:9]
	v_mul_f64 v[92:93], v[205:206], s[40:41]
	v_add_f64 v[10:11], v[136:137], v[10:11]
	v_add_f64 v[8:9], v[100:101], v[8:9]
	s_clause 0x3
	buffer_load_dword v100, off, s[60:63], 0 offset:108
	buffer_load_dword v101, off, s[60:63], 0 offset:112
	;; [unrolled: 1-line block ×4, first 2 shown]
	v_add_f64 v[10:11], v[104:105], v[10:11]
	s_clause 0x1
	buffer_load_dword v104, off, s[60:63], 0 offset:124
	buffer_load_dword v105, off, s[60:63], 0 offset:128
	s_waitcnt vmcnt(6)
	v_add_f64 v[92:93], v[94:95], -v[92:93]
	v_mul_f64 v[94:95], v[185:186], s[34:35]
	v_add_f64 v[8:9], v[116:117], v[8:9]
	v_mul_f64 v[116:117], v[171:172], s[36:37]
	v_add_f64 v[8:9], v[207:208], v[8:9]
	v_fma_f64 v[118:119], v[163:164], s[26:27], -v[116:117]
	v_fma_f64 v[116:117], v[163:164], s[26:27], v[116:117]
	v_add_f64 v[8:9], v[92:93], v[8:9]
	v_add_f64 v[6:7], v[118:119], v[6:7]
	;; [unrolled: 1-line block ×3, first 2 shown]
	v_mul_f64 v[116:117], v[159:160], s[36:37]
	v_fma_f64 v[118:119], v[161:162], s[26:27], -v[116:117]
	v_fma_f64 v[116:117], v[161:162], s[26:27], v[116:117]
	s_waitcnt vmcnt(4)
	v_add_f64 v[94:95], v[94:95], v[100:101]
	v_mul_f64 v[100:101], v[211:212], s[44:45]
	v_add_f64 v[92:93], v[94:95], v[10:11]
	s_waitcnt vmcnt(2)
	v_add_f64 v[100:101], v[102:103], -v[100:101]
	v_mul_f64 v[102:103], v[187:188], s[42:43]
	v_add_f64 v[10:11], v[100:101], v[8:9]
	s_waitcnt vmcnt(0)
	v_add_f64 v[102:103], v[102:103], v[104:105]
	v_mul_f64 v[100:101], v[165:166], s[40:41]
	v_mul_f64 v[104:105], v[155:156], s[40:41]
	v_add_f64 v[8:9], v[102:103], v[92:93]
	v_mul_f64 v[92:93], v[155:156], s[56:57]
	v_fma_f64 v[102:103], v[157:158], s[34:35], v[100:101]
	v_fma_f64 v[100:101], v[157:158], s[34:35], -v[100:101]
	v_fma_f64 v[106:107], v[153:154], s[34:35], -v[104:105]
	v_fma_f64 v[104:105], v[153:154], s[34:35], v[104:105]
	v_fma_f64 v[94:95], v[153:154], s[22:23], -v[92:93]
	v_fma_f64 v[92:93], v[153:154], s[22:23], v[92:93]
	v_add_f64 v[102:103], v[102:103], v[120:121]
	v_add_f64 v[100:101], v[100:101], v[110:111]
	v_add_f64 v[106:107], v[106:107], v[209:210]
	v_fma_f64 v[110:111], v[157:158], s[8:9], v[108:109]
	v_fma_f64 v[108:109], v[157:158], s[8:9], -v[108:109]
	v_add_f64 v[104:105], v[104:105], v[130:131]
	v_add_f64 v[94:95], v[94:95], v[138:139]
	;; [unrolled: 1-line block ×7, first 2 shown]
	v_mul_f64 v[116:117], v[171:172], s[16:17]
	v_fma_f64 v[118:119], v[163:164], s[20:21], v[116:117]
	v_fma_f64 v[116:117], v[163:164], s[20:21], -v[116:117]
	v_add_f64 v[102:103], v[118:119], v[102:103]
	v_mul_f64 v[118:119], v[159:160], s[16:17]
	v_add_f64 v[100:101], v[116:117], v[100:101]
	v_mul_f64 v[116:117], v[175:176], s[54:55]
	v_fma_f64 v[120:121], v[161:162], s[20:21], -v[118:119]
	v_fma_f64 v[108:109], v[161:162], s[20:21], v[118:119]
	v_add_f64 v[106:107], v[120:121], v[106:107]
	v_fma_f64 v[120:121], v[173:174], s[42:43], -v[116:117]
	v_fma_f64 v[116:117], v[173:174], s[42:43], v[116:117]
	v_add_f64 v[104:105], v[108:109], v[104:105]
	v_add_f64 v[6:7], v[120:121], v[6:7]
	v_add_f64 v[4:5], v[116:117], v[4:5]
	v_mul_f64 v[116:117], v[169:170], s[54:55]
	v_fma_f64 v[120:121], v[167:168], s[42:43], -v[116:117]
	v_fma_f64 v[116:117], v[167:168], s[42:43], v[116:117]
	v_add_f64 v[94:95], v[120:121], v[94:95]
	v_add_f64 v[92:93], v[116:117], v[92:93]
	v_mul_f64 v[116:117], v[175:176], s[10:11]
	v_fma_f64 v[120:121], v[173:174], s[18:19], v[116:117]
	v_fma_f64 v[116:117], v[173:174], s[18:19], -v[116:117]
	v_add_f64 v[102:103], v[120:121], v[102:103]
	v_mul_f64 v[120:121], v[191:192], s[40:41]
	v_add_f64 v[100:101], v[116:117], v[100:101]
	v_mul_f64 v[116:117], v[191:192], s[54:55]
	v_fma_f64 v[126:127], v[179:180], s[34:35], -v[120:121]
	v_fma_f64 v[120:121], v[179:180], s[34:35], v[120:121]
	v_fma_f64 v[136:137], v[179:180], s[42:43], v[116:117]
	v_fma_f64 v[116:117], v[179:180], s[42:43], -v[116:117]
	v_add_f64 v[6:7], v[126:127], v[6:7]
	v_add_f64 v[4:5], v[120:121], v[4:5]
	v_mul_f64 v[120:121], v[181:182], s[40:41]
	v_add_f64 v[102:103], v[136:137], v[102:103]
	v_add_f64 v[100:101], v[116:117], v[100:101]
	v_mul_f64 v[116:117], v[201:202], s[24:25]
	v_fma_f64 v[126:127], v[177:178], s[34:35], -v[120:121]
	v_fma_f64 v[120:121], v[177:178], s[34:35], v[120:121]
	v_add_f64 v[94:95], v[126:127], v[94:95]
	v_add_f64 v[92:93], v[120:121], v[92:93]
	v_mul_f64 v[120:121], v[201:202], s[48:49]
	v_fma_f64 v[126:127], v[189:190], s[30:31], -v[120:121]
	v_fma_f64 v[120:121], v[189:190], s[30:31], v[120:121]
	v_add_f64 v[6:7], v[126:127], v[6:7]
	v_add_f64 v[4:5], v[120:121], v[4:5]
	v_mul_f64 v[120:121], v[193:194], s[48:49]
	s_mov_b32 s49, 0x3fc7851a
	s_mov_b32 s48, s40
	v_mul_f64 v[108:109], v[171:172], s[48:49]
	v_fma_f64 v[126:127], v[183:184], s[30:31], -v[120:121]
	v_fma_f64 v[120:121], v[183:184], s[30:31], v[120:121]
	v_fma_f64 v[118:119], v[163:164], s[34:35], v[108:109]
	v_fma_f64 v[108:109], v[163:164], s[34:35], -v[108:109]
	v_add_f64 v[94:95], v[126:127], v[94:95]
	v_mul_f64 v[126:127], v[205:206], s[28:29]
	v_add_f64 v[92:93], v[120:121], v[92:93]
	v_mul_f64 v[120:121], v[155:156], s[2:3]
	v_add_f64 v[110:111], v[118:119], v[110:111]
	v_mul_f64 v[118:119], v[181:182], s[54:55]
	v_add_f64 v[98:99], v[108:109], v[98:99]
	v_fma_f64 v[128:129], v[199:200], s[18:19], -v[126:127]
	v_fma_f64 v[126:127], v[199:200], s[18:19], v[126:127]
	v_fma_f64 v[136:137], v[177:178], s[42:43], -v[118:119]
	v_add_f64 v[6:7], v[128:129], v[6:7]
	v_add_f64 v[126:127], v[126:127], v[4:5]
	v_mul_f64 v[4:5], v[197:198], s[28:29]
	v_fma_f64 v[128:129], v[185:186], s[18:19], -v[4:5]
	v_fma_f64 v[4:5], v[185:186], s[18:19], v[4:5]
	v_add_f64 v[128:129], v[128:129], v[94:95]
	v_mul_f64 v[94:95], v[169:170], s[10:11]
	v_fma_f64 v[130:131], v[167:168], s[18:19], -v[94:95]
	v_fma_f64 v[94:95], v[167:168], s[18:19], v[94:95]
	v_add_f64 v[106:107], v[130:131], v[106:107]
	v_fma_f64 v[130:131], v[153:154], s[8:9], -v[120:121]
	v_add_f64 v[94:95], v[94:95], v[104:105]
	v_mul_f64 v[104:105], v[175:176], s[16:17]
	v_fma_f64 v[120:121], v[153:154], s[8:9], v[120:121]
	v_add_f64 v[106:107], v[136:137], v[106:107]
	v_mul_f64 v[136:137], v[159:160], s[48:49]
	v_add_f64 v[130:131], v[130:131], v[221:222]
	v_fma_f64 v[108:109], v[173:174], s[20:21], v[104:105]
	v_add_f64 v[96:97], v[120:121], v[96:97]
	v_mul_f64 v[120:121], v[169:170], s[16:17]
	v_fma_f64 v[138:139], v[161:162], s[34:35], -v[136:137]
	v_add_f64 v[108:109], v[108:109], v[110:111]
	v_mul_f64 v[110:111], v[193:194], s[24:25]
	v_add_f64 v[130:131], v[138:139], v[130:131]
	v_fma_f64 v[138:139], v[189:190], s[22:23], v[116:117]
	v_fma_f64 v[116:117], v[189:190], s[22:23], -v[116:117]
	v_add_f64 v[102:103], v[138:139], v[102:103]
	v_fma_f64 v[138:139], v[183:184], s[22:23], -v[110:111]
	v_add_f64 v[100:101], v[116:117], v[100:101]
	v_add_f64 v[116:117], v[4:5], v[92:93]
	v_mul_f64 v[4:5], v[205:206], s[52:53]
	v_add_f64 v[106:107], v[138:139], v[106:107]
	v_fma_f64 v[138:139], v[167:168], s[20:21], -v[120:121]
	v_fma_f64 v[92:93], v[199:200], s[8:9], v[4:5]
	v_fma_f64 v[4:5], v[199:200], s[8:9], -v[4:5]
	v_add_f64 v[130:131], v[138:139], v[130:131]
	v_add_f64 v[138:139], v[92:93], v[102:103]
	v_fma_f64 v[92:93], v[173:174], s[20:21], -v[104:105]
	v_add_f64 v[100:101], v[4:5], v[100:101]
	v_mul_f64 v[104:105], v[197:198], s[52:53]
	v_add_f64 v[92:93], v[92:93], v[98:99]
	v_fma_f64 v[98:99], v[177:178], s[42:43], v[118:119]
	v_add_f64 v[94:95], v[98:99], v[94:95]
	v_mul_f64 v[98:99], v[191:192], s[36:37]
	v_fma_f64 v[4:5], v[179:180], s[26:27], -v[98:99]
	v_fma_f64 v[102:103], v[179:180], s[26:27], v[98:99]
	v_add_f64 v[4:5], v[4:5], v[92:93]
	v_fma_f64 v[92:93], v[183:184], s[22:23], v[110:111]
	v_add_f64 v[102:103], v[102:103], v[108:109]
	v_fma_f64 v[108:109], v[185:186], s[8:9], -v[104:105]
	v_fma_f64 v[104:105], v[185:186], s[8:9], v[104:105]
	v_add_f64 v[92:93], v[92:93], v[94:95]
	v_mul_f64 v[94:95], v[201:202], s[28:29]
	v_add_f64 v[207:208], v[108:109], v[106:107]
	v_fma_f64 v[106:107], v[161:162], s[34:35], v[136:137]
	v_add_f64 v[92:93], v[104:105], v[92:93]
	v_fma_f64 v[98:99], v[189:190], s[18:19], v[94:95]
	v_fma_f64 v[94:95], v[189:190], s[18:19], -v[94:95]
	v_add_f64 v[96:97], v[106:107], v[96:97]
	v_mul_f64 v[106:107], v[181:182], s[36:37]
	v_add_f64 v[98:99], v[98:99], v[102:103]
	v_fma_f64 v[102:103], v[167:168], s[20:21], v[120:121]
	v_add_f64 v[4:5], v[94:95], v[4:5]
	v_fma_f64 v[108:109], v[177:178], s[26:27], -v[106:107]
	v_fma_f64 v[94:95], v[177:178], s[26:27], v[106:107]
	v_mul_f64 v[120:121], v[155:156], s[38:39]
	v_add_f64 v[96:97], v[102:103], v[96:97]
	v_mul_f64 v[102:103], v[193:194], s[28:29]
	v_add_f64 v[108:109], v[108:109], v[130:131]
	v_fma_f64 v[130:131], v[153:154], s[30:31], v[120:121]
	v_fma_f64 v[120:121], v[153:154], s[30:31], -v[120:121]
	v_add_f64 v[94:95], v[94:95], v[96:97]
	v_fma_f64 v[110:111], v[183:184], s[18:19], -v[102:103]
	v_mul_f64 v[96:97], v[165:166], s[38:39]
	v_fma_f64 v[102:103], v[183:184], s[18:19], v[102:103]
	v_add_f64 v[130:131], v[130:131], v[219:220]
	v_add_f64 v[108:109], v[110:111], v[108:109]
	v_mul_f64 v[110:111], v[165:166], s[46:47]
	v_fma_f64 v[106:107], v[157:158], s[30:31], -v[96:97]
	v_fma_f64 v[96:97], v[157:158], s[30:31], v[96:97]
	v_add_f64 v[94:95], v[102:103], v[94:95]
	v_mul_f64 v[165:166], v[193:194], s[2:3]
	v_fma_f64 v[118:119], v[157:158], s[26:27], -v[110:111]
	v_fma_f64 v[110:111], v[157:158], s[26:27], v[110:111]
	v_add_f64 v[106:107], v[106:107], v[122:123]
	v_mul_f64 v[122:123], v[155:156], s[46:47]
	v_add_f64 v[96:97], v[96:97], v[112:113]
	v_add_f64 v[112:113], v[120:121], v[132:133]
	v_mul_f64 v[120:121], v[171:172], s[2:3]
	v_add_f64 v[118:119], v[118:119], v[124:125]
	v_add_f64 v[110:111], v[110:111], v[114:115]
	v_mul_f64 v[114:115], v[159:160], s[2:3]
	v_fma_f64 v[136:137], v[153:154], s[26:27], v[122:123]
	v_fma_f64 v[122:123], v[153:154], s[26:27], -v[122:123]
	v_mul_f64 v[153:154], v[159:160], s[54:55]
	v_fma_f64 v[132:133], v[163:164], s[8:9], -v[120:121]
	v_fma_f64 v[120:121], v[163:164], s[8:9], v[120:121]
	v_mul_f64 v[159:160], v[181:182], s[56:57]
	v_fma_f64 v[155:156], v[161:162], s[8:9], v[114:115]
	v_fma_f64 v[114:115], v[161:162], s[8:9], -v[114:115]
	v_add_f64 v[124:125], v[136:137], v[213:214]
	v_fma_f64 v[157:158], v[161:162], s[42:43], v[153:154]
	v_add_f64 v[106:107], v[132:133], v[106:107]
	v_mul_f64 v[132:133], v[171:172], s[54:55]
	v_add_f64 v[96:97], v[120:121], v[96:97]
	v_add_f64 v[122:123], v[122:123], v[134:135]
	v_fma_f64 v[153:154], v[161:162], s[42:43], -v[153:154]
	v_mul_f64 v[161:162], v[201:202], s[2:3]
	v_add_f64 v[130:131], v[155:156], v[130:131]
	v_add_f64 v[112:113], v[114:115], v[112:113]
	v_mul_f64 v[114:115], v[175:176], s[40:41]
	v_add_f64 v[124:125], v[157:158], v[124:125]
	v_fma_f64 v[136:137], v[163:164], s[42:43], -v[132:133]
	v_fma_f64 v[132:133], v[163:164], s[42:43], v[132:133]
	v_add_f64 v[122:123], v[153:154], v[122:123]
	v_mul_f64 v[153:154], v[191:192], s[50:51]
	v_fma_f64 v[120:121], v[173:174], s[34:35], -v[114:115]
	v_fma_f64 v[114:115], v[173:174], s[34:35], v[114:115]
	v_add_f64 v[118:119], v[136:137], v[118:119]
	v_add_f64 v[110:111], v[132:133], v[110:111]
	v_mul_f64 v[132:133], v[169:170], s[40:41]
	v_mul_f64 v[136:137], v[169:170], s[38:39]
	;; [unrolled: 1-line block ×3, first 2 shown]
	v_add_f64 v[106:107], v[120:121], v[106:107]
	v_mul_f64 v[120:121], v[175:176], s[38:39]
	v_add_f64 v[96:97], v[114:115], v[96:97]
	v_mul_f64 v[114:115], v[201:202], s[16:17]
	v_mul_f64 v[175:176], v[203:204], s[36:37]
	v_fma_f64 v[155:156], v[167:168], s[34:35], v[132:133]
	v_fma_f64 v[157:158], v[167:168], s[30:31], v[136:137]
	v_fma_f64 v[132:133], v[167:168], s[34:35], -v[132:133]
	v_fma_f64 v[136:137], v[167:168], s[30:31], -v[136:137]
	v_mul_f64 v[167:168], v[193:194], s[16:17]
	v_fma_f64 v[134:135], v[173:174], s[30:31], -v[120:121]
	v_fma_f64 v[120:121], v[173:174], s[30:31], v[120:121]
	v_fma_f64 v[163:164], v[189:190], s[20:21], -v[114:115]
	v_fma_f64 v[114:115], v[189:190], s[20:21], v[114:115]
	v_add_f64 v[130:131], v[155:156], v[130:131]
	v_add_f64 v[124:125], v[157:158], v[124:125]
	v_mul_f64 v[155:156], v[181:182], s[50:51]
	v_add_f64 v[112:113], v[132:133], v[112:113]
	v_fma_f64 v[132:133], v[179:180], s[20:21], -v[153:154]
	v_fma_f64 v[153:154], v[179:180], s[20:21], v[153:154]
	v_add_f64 v[122:123], v[136:137], v[122:123]
	v_mul_f64 v[136:137], v[205:206], s[38:39]
	v_mul_f64 v[173:174], v[197:198], s[38:39]
	;; [unrolled: 1-line block ×3, first 2 shown]
	v_add_f64 v[118:119], v[134:135], v[118:119]
	v_mul_f64 v[134:135], v[191:192], s[56:57]
	v_add_f64 v[110:111], v[120:121], v[110:111]
	v_fma_f64 v[120:121], v[177:178], s[20:21], v[155:156]
	v_fma_f64 v[155:156], v[177:178], s[20:21], -v[155:156]
	v_add_f64 v[118:119], v[132:133], v[118:119]
	v_fma_f64 v[157:158], v[179:180], s[22:23], -v[134:135]
	v_add_f64 v[110:111], v[153:154], v[110:111]
	v_fma_f64 v[134:135], v[179:180], s[22:23], v[134:135]
	v_mul_f64 v[132:133], v[205:206], s[44:45]
	v_mul_f64 v[153:154], v[197:198], s[24:25]
	v_add_f64 v[120:121], v[120:121], v[124:125]
	v_add_f64 v[122:123], v[155:156], v[122:123]
	v_fma_f64 v[155:156], v[185:186], s[42:43], v[169:170]
	v_mul_f64 v[179:180], v[203:204], s[10:11]
	v_fma_f64 v[169:170], v[185:186], s[42:43], -v[169:170]
	v_add_f64 v[106:107], v[157:158], v[106:107]
	v_fma_f64 v[157:158], v[177:178], s[22:23], v[159:160]
	v_fma_f64 v[159:160], v[177:178], s[22:23], -v[159:160]
	v_add_f64 v[96:97], v[134:135], v[96:97]
	v_fma_f64 v[134:135], v[183:184], s[8:9], v[165:166]
	v_fma_f64 v[171:172], v[199:200], s[42:43], -v[132:133]
	v_fma_f64 v[165:166], v[183:184], s[8:9], -v[165:166]
	v_fma_f64 v[132:133], v[199:200], s[42:43], v[132:133]
	v_mul_f64 v[177:178], v[203:204], s[40:41]
	v_add_f64 v[106:107], v[163:164], v[106:107]
	v_add_f64 v[124:125], v[157:158], v[130:131]
	;; [unrolled: 1-line block ×3, first 2 shown]
	v_fma_f64 v[130:131], v[189:190], s[8:9], -v[161:162]
	v_mul_f64 v[159:160], v[205:206], s[24:25]
	v_fma_f64 v[161:162], v[189:190], s[8:9], v[161:162]
	v_fma_f64 v[157:158], v[183:184], s[20:21], v[167:168]
	v_fma_f64 v[167:168], v[183:184], s[20:21], -v[167:168]
	v_fma_f64 v[163:164], v[199:200], s[30:31], -v[136:137]
	v_add_f64 v[120:121], v[134:135], v[120:121]
	v_add_f64 v[96:97], v[114:115], v[96:97]
	v_fma_f64 v[114:115], v[185:186], s[22:23], v[153:154]
	v_fma_f64 v[136:137], v[199:200], s[30:31], v[136:137]
	v_fma_f64 v[153:154], v[185:186], s[22:23], -v[153:154]
	v_add_f64 v[122:123], v[165:166], v[122:123]
	v_fma_f64 v[183:184], v[187:188], s[18:19], v[179:180]
	v_fma_f64 v[189:190], v[187:188], s[26:27], v[175:176]
	v_fma_f64 v[175:176], v[187:188], s[26:27], -v[175:176]
	v_fma_f64 v[179:180], v[187:188], s[18:19], -v[179:180]
	v_add_f64 v[106:107], v[171:172], v[106:107]
	v_mul_f64 v[171:172], v[211:212], s[40:41]
	v_add_f64 v[118:119], v[130:131], v[118:119]
	v_fma_f64 v[102:103], v[199:200], s[22:23], -v[159:160]
	v_fma_f64 v[159:160], v[199:200], s[22:23], v[159:160]
	v_add_f64 v[110:111], v[161:162], v[110:111]
	v_mul_f64 v[130:131], v[211:212], s[2:3]
	v_add_f64 v[112:113], v[167:168], v[112:113]
	v_mul_f64 v[167:168], v[211:212], s[10:11]
	v_add_f64 v[124:125], v[157:158], v[124:125]
	v_add_f64 v[134:135], v[163:164], v[4:5]
	v_fma_f64 v[157:158], v[185:186], s[30:31], v[173:174]
	v_mul_f64 v[163:164], v[211:212], s[36:37]
	v_mul_f64 v[161:162], v[211:212], s[24:25]
	;; [unrolled: 1-line block ×3, first 2 shown]
	v_fma_f64 v[173:174], v[185:186], s[30:31], -v[173:174]
	v_add_f64 v[114:115], v[114:115], v[120:121]
	v_add_f64 v[132:133], v[132:133], v[96:97]
	v_fma_f64 v[96:97], v[187:188], s[34:35], v[177:178]
	v_add_f64 v[136:137], v[136:137], v[98:99]
	v_fma_f64 v[185:186], v[187:188], s[22:23], v[181:182]
	v_fma_f64 v[181:182], v[187:188], s[22:23], -v[181:182]
	v_fma_f64 v[165:166], v[195:196], s[34:35], -v[171:172]
	v_fma_f64 v[171:172], v[195:196], s[34:35], v[171:172]
	v_fma_f64 v[177:178], v[187:188], s[34:35], -v[177:178]
	v_add_f64 v[118:119], v[102:103], v[118:119]
	v_add_f64 v[92:93], v[189:190], v[92:93]
	;; [unrolled: 1-line block ×4, first 2 shown]
	s_clause 0x1
	buffer_load_dword v0, off, s[60:63], 0 offset:32
	buffer_load_dword v1, off, s[60:63], 0 offset:4
	v_fma_f64 v[102:103], v[195:196], s[8:9], -v[130:131]
	v_fma_f64 v[104:105], v[195:196], s[18:19], -v[167:168]
	v_add_f64 v[120:121], v[155:156], v[124:125]
	v_add_f64 v[124:125], v[157:158], v[94:95]
	v_fma_f64 v[94:95], v[195:196], s[26:27], -v[163:164]
	v_fma_f64 v[98:99], v[195:196], s[22:23], -v[161:162]
	v_fma_f64 v[157:158], v[187:188], s[8:9], v[4:5]
	v_fma_f64 v[130:131], v[195:196], s[8:9], v[130:131]
	v_fma_f64 v[155:156], v[187:188], s[8:9], -v[4:5]
	v_fma_f64 v[163:164], v[195:196], s[26:27], v[163:164]
	v_add_f64 v[173:174], v[173:174], v[108:109]
	v_fma_f64 v[161:162], v[195:196], s[22:23], v[161:162]
	v_add_f64 v[169:170], v[169:170], v[112:113]
	;; [unrolled: 2-line block ×3, first 2 shown]
	v_add_f64 v[4:5], v[102:103], v[6:7]
	v_add_f64 v[6:7], v[153:154], v[122:123]
	;; [unrolled: 1-line block ×20, first 2 shown]
	s_waitcnt vmcnt(1)
	v_and_b32_e32 v0, 0xffff, v0
	s_waitcnt vmcnt(0)
	v_lshl_add_u32 v0, v0, 4, v1
	ds_write_b128 v0, v[108:111]
	ds_write_b128 v0, v[104:107] offset:16
	ds_write_b128 v0, v[100:103] offset:32
	;; [unrolled: 1-line block ×16, first 2 shown]
.LBB0_17:
	s_or_b32 exec_lo, exec_lo, s1
	s_waitcnt lgkmcnt(0)
	s_barrier
	buffer_gl0_inv
	ds_read_b128 v[8:11], v255
	ds_read_b128 v[0:3], v255 offset:816
	ds_read_b128 v[96:99], v255 offset:5984
	;; [unrolled: 1-line block ×8, first 2 shown]
	s_and_saveexec_b32 s1, s0
	s_cbranch_execz .LBB0_19
; %bb.18:
	ds_read_b128 v[148:151], v255 offset:2448
	ds_read_b128 v[144:147], v255 offset:5440
	;; [unrolled: 1-line block ×3, first 2 shown]
.LBB0_19:
	s_or_b32 exec_lo, exec_lo, s1
	s_waitcnt lgkmcnt(0)
	s_barrier
	buffer_gl0_inv
	buffer_load_dword v20, off, s[60:63], 0 offset:68 ; 4-byte Folded Reload
	v_mul_f64 v[108:109], v[82:83], v[106:107]
	v_mul_f64 v[110:111], v[78:79], v[98:99]
	;; [unrolled: 1-line block ×12, first 2 shown]
	s_mov_b32 s2, 0xe8584caa
	s_mov_b32 s3, 0xbfebb67a
	;; [unrolled: 1-line block ×4, first 2 shown]
	v_fma_f64 v[104:105], v[80:81], v[104:105], v[108:109]
	v_fma_f64 v[96:97], v[76:77], v[96:97], v[110:111]
	v_fma_f64 v[80:81], v[80:81], v[106:107], -v[82:83]
	v_fma_f64 v[76:77], v[76:77], v[98:99], -v[78:79]
	v_fma_f64 v[78:79], v[64:65], v[100:101], v[112:113]
	v_fma_f64 v[12:13], v[60:61], v[12:13], v[114:115]
	v_fma_f64 v[64:65], v[64:65], v[102:103], -v[66:67]
	v_fma_f64 v[14:15], v[60:61], v[14:15], -v[62:63]
	;; [unrolled: 4-line block ×3, first 2 shown]
	v_add_f64 v[92:93], v[8:9], v[104:105]
	v_add_f64 v[66:67], v[104:105], v[96:97]
	v_add_f64 v[104:105], v[104:105], -v[96:97]
	v_add_f64 v[68:69], v[80:81], v[76:77]
	v_add_f64 v[94:95], v[80:81], -v[76:77]
	v_add_f64 v[70:71], v[78:79], v[12:13]
	v_add_f64 v[80:81], v[10:11], v[80:81]
	;; [unrolled: 1-line block ×9, first 2 shown]
	v_add_f64 v[64:65], v[64:65], -v[14:15]
	v_add_f64 v[78:79], v[78:79], -v[12:13]
	;; [unrolled: 1-line block ×4, first 2 shown]
	v_fma_f64 v[66:67], v[66:67], -0.5, v[8:9]
	v_fma_f64 v[68:69], v[68:69], -0.5, v[10:11]
	;; [unrolled: 1-line block ×3, first 2 shown]
	v_add_f64 v[0:1], v[92:93], v[96:97]
	v_fma_f64 v[72:73], v[72:73], -0.5, v[2:3]
	v_add_f64 v[2:3], v[80:81], v[76:77]
	v_fma_f64 v[74:75], v[74:75], -0.5, v[4:5]
	;; [unrolled: 2-line block ×3, first 2 shown]
	v_add_f64 v[6:7], v[100:101], v[14:15]
	v_add_f64 v[8:9], v[102:103], v[60:61]
	;; [unrolled: 1-line block ×3, first 2 shown]
	v_fma_f64 v[12:13], v[94:95], s[2:3], v[66:67]
	v_fma_f64 v[16:17], v[94:95], s[8:9], v[66:67]
	;; [unrolled: 1-line block ×12, first 2 shown]
	s_waitcnt vmcnt(0)
	ds_write_b128 v20, v[0:3]
	ds_write_b128 v20, v[12:15] offset:272
	ds_write_b128 v20, v[16:19] offset:544
	buffer_load_dword v0, off, s[60:63], 0 offset:60 ; 4-byte Folded Reload
	s_waitcnt vmcnt(0)
	ds_write_b128 v0, v[4:7]
	ds_write_b128 v0, v[60:63] offset:272
	ds_write_b128 v0, v[64:67] offset:544
	buffer_load_dword v0, off, s[60:63], 0 offset:52 ; 4-byte Folded Reload
	s_waitcnt vmcnt(0)
	ds_write_b128 v0, v[8:11]
	ds_write_b128 v0, v[68:71] offset:272
	ds_write_b128 v0, v[72:75] offset:544
	s_and_saveexec_b32 s1, s0
	s_cbranch_execz .LBB0_21
; %bb.20:
	s_clause 0x3
	buffer_load_dword v8, off, s[60:63], 0 offset:76
	buffer_load_dword v9, off, s[60:63], 0 offset:80
	;; [unrolled: 1-line block ×4, first 2 shown]
	v_mul_f64 v[0:1], v[26:27], v[144:145]
	v_mul_f64 v[4:5], v[26:27], v[146:147]
	v_fma_f64 v[0:1], v[24:25], v[146:147], -v[0:1]
	v_fma_f64 v[4:5], v[24:25], v[144:145], v[4:5]
	v_add_f64 v[14:15], v[150:151], v[0:1]
	s_waitcnt vmcnt(0)
	v_mul_f64 v[2:3], v[10:11], v[140:141]
	v_mul_f64 v[6:7], v[10:11], v[142:143]
	v_fma_f64 v[2:3], v[8:9], v[142:143], -v[2:3]
	v_fma_f64 v[6:7], v[8:9], v[140:141], v[6:7]
	v_add_f64 v[8:9], v[0:1], v[2:3]
	v_add_f64 v[10:11], v[4:5], v[6:7]
	v_add_f64 v[12:13], v[4:5], -v[6:7]
	v_add_f64 v[4:5], v[148:149], v[4:5]
	v_add_f64 v[16:17], v[0:1], -v[2:3]
	v_add_f64 v[2:3], v[14:15], v[2:3]
	v_fma_f64 v[8:9], v[8:9], -0.5, v[150:151]
	v_fma_f64 v[18:19], v[10:11], -0.5, v[148:149]
	v_add_f64 v[0:1], v[4:5], v[6:7]
	v_fma_f64 v[6:7], v[12:13], s[2:3], v[8:9]
	v_fma_f64 v[10:11], v[12:13], s[8:9], v[8:9]
	buffer_load_dword v13, off, s[60:63], 0 offset:36 ; 4-byte Folded Reload
	v_mov_b32_e32 v12, 51
	v_fma_f64 v[8:9], v[16:17], s[2:3], v[18:19]
	v_fma_f64 v[4:5], v[16:17], s[8:9], v[18:19]
	s_waitcnt vmcnt(0)
	v_mul_u32_u24_sdwa v12, v13, v12 dst_sel:DWORD dst_unused:UNUSED_PAD src0_sel:WORD_0 src1_sel:DWORD
	buffer_load_dword v13, off, s[60:63], 0 offset:44 ; 4-byte Folded Reload
	s_waitcnt vmcnt(0)
	v_add_nc_u32_sdwa v12, v12, v13 dst_sel:DWORD dst_unused:UNUSED_PAD src0_sel:DWORD src1_sel:BYTE_0
	buffer_load_dword v13, off, s[60:63], 0 offset:4 ; 4-byte Folded Reload
	s_waitcnt vmcnt(0)
	v_lshl_add_u32 v12, v12, 4, v13
	ds_write_b128 v12, v[0:3]
	ds_write_b128 v12, v[8:11] offset:272
	ds_write_b128 v12, v[4:7] offset:544
.LBB0_21:
	s_or_b32 exec_lo, exec_lo, s1
	s_waitcnt lgkmcnt(0)
	s_barrier
	buffer_gl0_inv
	ds_read_b128 v[4:7], v255 offset:816
	ds_read_b128 v[0:3], v255
	ds_read_b128 v[8:11], v255 offset:1632
	ds_read_b128 v[12:15], v255 offset:2448
	;; [unrolled: 1-line block ×9, first 2 shown]
	s_mov_b32 s2, 0xf8bb580b
	s_mov_b32 s8, 0x8764f0ba
	;; [unrolled: 1-line block ×9, first 2 shown]
	s_waitcnt lgkmcnt(10)
	v_mul_f64 v[76:77], v[58:59], v[6:7]
	v_mul_f64 v[58:59], v[58:59], v[4:5]
	s_waitcnt lgkmcnt(8)
	v_mul_f64 v[80:81], v[38:39], v[10:11]
	v_mul_f64 v[38:39], v[38:39], v[8:9]
	;; [unrolled: 3-line block ×3, first 2 shown]
	s_mov_b32 s22, 0x640f44db
	s_waitcnt lgkmcnt(3)
	v_mul_f64 v[94:95], v[50:51], v[62:63]
	v_mul_f64 v[50:51], v[50:51], v[60:61]
	s_waitcnt lgkmcnt(1)
	v_mul_f64 v[82:83], v[90:91], v[68:69]
	s_waitcnt lgkmcnt(0)
	v_mul_f64 v[78:79], v[86:87], v[72:73]
	s_mov_b32 s21, 0xbfefac9e
	s_mov_b32 s23, 0xbfc2375f
	;; [unrolled: 1-line block ×11, first 2 shown]
	v_fma_f64 v[76:77], v[56:57], v[4:5], v[76:77]
	v_fma_f64 v[56:57], v[56:57], v[6:7], -v[58:59]
	v_mul_f64 v[6:7], v[86:87], v[74:75]
	v_mul_f64 v[58:59], v[90:91], v[70:71]
	;; [unrolled: 1-line block ×6, first 2 shown]
	v_fma_f64 v[8:9], v[36:37], v[8:9], v[80:81]
	v_fma_f64 v[10:11], v[36:37], v[10:11], -v[38:39]
	v_fma_f64 v[4:5], v[84:85], v[74:75], -v[78:79]
	v_mul_f64 v[74:75], v[46:47], v[22:23]
	v_mul_f64 v[46:47], v[46:47], v[20:21]
	v_fma_f64 v[16:17], v[28:29], v[16:17], v[92:93]
	v_fma_f64 v[18:19], v[28:29], v[18:19], -v[30:31]
	v_fma_f64 v[28:29], v[48:49], v[60:61], v[94:95]
	v_fma_f64 v[30:31], v[48:49], v[62:63], -v[50:51]
	v_mul_f64 v[78:79], v[42:43], v[26:27]
	v_mul_f64 v[42:43], v[42:43], v[24:25]
	s_mov_b32 s0, s2
	s_mov_b32 s17, 0x3fed1bb4
	;; [unrolled: 1-line block ×3, first 2 shown]
	v_add_f64 v[36:37], v[0:1], v[76:77]
	v_add_f64 v[38:39], v[2:3], v[56:57]
	v_fma_f64 v[6:7], v[84:85], v[72:73], v[6:7]
	v_fma_f64 v[58:59], v[88:89], v[68:69], v[58:59]
	;; [unrolled: 1-line block ×3, first 2 shown]
	v_fma_f64 v[14:15], v[32:33], v[14:15], -v[34:35]
	v_fma_f64 v[32:33], v[52:53], v[64:65], v[90:91]
	v_fma_f64 v[34:35], v[52:53], v[66:67], -v[54:55]
	v_fma_f64 v[68:69], v[88:89], v[70:71], -v[82:83]
	s_mov_b32 s27, 0x3fefac9e
	v_add_f64 v[48:49], v[56:57], -v[4:5]
	v_add_f64 v[50:51], v[56:57], v[4:5]
	v_fma_f64 v[20:21], v[44:45], v[20:21], v[74:75]
	v_fma_f64 v[22:23], v[44:45], v[22:23], -v[46:47]
	s_mov_b32 s39, 0x3fd207e7
	s_mov_b32 s26, s20
	;; [unrolled: 1-line block ×3, first 2 shown]
	v_fma_f64 v[24:25], v[40:41], v[24:25], v[78:79]
	v_fma_f64 v[26:27], v[40:41], v[26:27], -v[42:43]
	s_mov_b32 s35, 0x3fe82f19
	s_mov_b32 s34, s24
	v_add_f64 v[64:65], v[18:19], v[30:31]
	v_add_f64 v[36:37], v[36:37], v[8:9]
	;; [unrolled: 1-line block ×4, first 2 shown]
	v_add_f64 v[42:43], v[76:77], -v[6:7]
	v_add_f64 v[44:45], v[8:9], v[58:59]
	v_add_f64 v[8:9], v[8:9], -v[58:59]
	v_add_f64 v[52:53], v[12:13], v[32:33]
	v_add_f64 v[54:55], v[14:15], v[34:35]
	v_add_f64 v[56:57], v[12:13], -v[32:33]
	v_add_f64 v[60:61], v[14:15], -v[34:35]
	;; [unrolled: 1-line block ×3, first 2 shown]
	v_add_f64 v[10:11], v[10:11], v[68:69]
	v_mul_f64 v[70:71], v[48:49], s[2:3]
	v_mul_f64 v[72:73], v[50:51], s[8:9]
	;; [unrolled: 1-line block ×6, first 2 shown]
	v_add_f64 v[66:67], v[18:19], -v[30:31]
	v_add_f64 v[62:63], v[16:17], v[28:29]
	v_add_f64 v[12:13], v[36:37], v[12:13]
	;; [unrolled: 1-line block ×3, first 2 shown]
	v_mul_f64 v[36:37], v[48:49], s[20:21]
	v_mul_f64 v[38:39], v[50:51], s[22:23]
	;; [unrolled: 1-line block ×9, first 2 shown]
	v_fma_f64 v[112:113], v[40:41], s[8:9], v[70:71]
	v_fma_f64 v[114:115], v[42:43], s[0:1], v[72:73]
	v_mul_f64 v[88:89], v[10:11], s[28:29]
	v_fma_f64 v[70:71], v[40:41], s[8:9], -v[70:71]
	v_fma_f64 v[72:73], v[42:43], s[2:3], v[72:73]
	v_fma_f64 v[116:117], v[40:41], s[18:19], v[74:75]
	v_fma_f64 v[118:119], v[42:43], s[16:17], v[76:77]
	v_mul_f64 v[90:91], v[46:47], s[38:39]
	v_mul_f64 v[92:93], v[10:11], s[36:37]
	;; [unrolled: 1-line block ×3, first 2 shown]
	v_add_f64 v[12:13], v[12:13], v[16:17]
	v_add_f64 v[14:15], v[14:15], v[18:19]
	v_fma_f64 v[120:121], v[40:41], s[22:23], v[36:37]
	v_fma_f64 v[122:123], v[42:43], s[26:27], v[38:39]
	v_fma_f64 v[36:37], v[40:41], s[22:23], -v[36:37]
	v_fma_f64 v[38:39], v[42:43], s[20:21], v[38:39]
	v_mul_f64 v[94:95], v[46:47], s[26:27]
	v_mul_f64 v[96:97], v[10:11], s[22:23]
	;; [unrolled: 1-line block ×4, first 2 shown]
	v_fma_f64 v[74:75], v[40:41], s[18:19], -v[74:75]
	v_fma_f64 v[76:77], v[42:43], s[10:11], v[76:77]
	v_fma_f64 v[124:125], v[40:41], s[28:29], v[78:79]
	v_fma_f64 v[126:127], v[42:43], s[34:35], v[80:81]
	v_fma_f64 v[78:79], v[40:41], s[28:29], -v[78:79]
	v_fma_f64 v[80:81], v[42:43], s[24:25], v[80:81]
	v_fma_f64 v[128:129], v[40:41], s[36:37], v[48:49]
	v_fma_f64 v[130:131], v[42:43], s[38:39], v[50:51]
	;; [unrolled: 4-line block ×3, first 2 shown]
	v_add_f64 v[12:13], v[12:13], v[20:21]
	v_add_f64 v[14:15], v[14:15], v[22:23]
	;; [unrolled: 1-line block ×4, first 2 shown]
	v_fma_f64 v[134:135], v[8:9], s[34:35], v[88:89]
	v_mul_f64 v[18:19], v[60:61], s[16:17]
	v_mul_f64 v[106:107], v[54:55], s[18:19]
	v_fma_f64 v[136:137], v[44:45], s[36:37], v[90:91]
	v_fma_f64 v[138:139], v[8:9], s[30:31], v[92:93]
	v_fma_f64 v[90:91], v[44:45], s[36:37], -v[90:91]
	v_fma_f64 v[92:93], v[8:9], s[38:39], v[92:93]
	v_add_f64 v[36:37], v[0:1], v[36:37]
	v_add_f64 v[38:39], v[2:3], v[38:39]
	v_mul_f64 v[108:109], v[60:61], s[2:3]
	v_fma_f64 v[82:83], v[44:45], s[18:19], -v[82:83]
	v_fma_f64 v[84:85], v[8:9], s[10:11], v[84:85]
	v_fma_f64 v[132:133], v[44:45], s[28:29], v[86:87]
	v_fma_f64 v[86:87], v[44:45], s[28:29], -v[86:87]
	v_fma_f64 v[88:89], v[8:9], s[24:25], v[88:89]
	v_fma_f64 v[140:141], v[44:45], s[22:23], v[94:95]
	v_fma_f64 v[142:143], v[8:9], s[20:21], v[96:97]
	v_fma_f64 v[94:95], v[44:45], s[22:23], -v[94:95]
	v_add_f64 v[12:13], v[12:13], v[24:25]
	v_add_f64 v[14:15], v[14:15], v[26:27]
	v_fma_f64 v[96:97], v[8:9], s[26:27], v[96:97]
	v_fma_f64 v[144:145], v[44:45], s[8:9], v[46:47]
	;; [unrolled: 1-line block ×3, first 2 shown]
	v_fma_f64 v[44:45], v[44:45], s[8:9], -v[46:47]
	v_fma_f64 v[8:9], v[8:9], s[0:1], v[10:11]
	v_fma_f64 v[10:11], v[52:53], s[22:23], v[98:99]
	;; [unrolled: 1-line block ×3, first 2 shown]
	v_add_f64 v[74:75], v[0:1], v[74:75]
	v_add_f64 v[76:77], v[2:3], v[76:77]
	;; [unrolled: 1-line block ×4, first 2 shown]
	v_mul_f64 v[102:103], v[60:61], s[38:39]
	v_mul_f64 v[110:111], v[54:55], s[8:9]
	v_fma_f64 v[150:151], v[56:57], s[30:31], v[104:105]
	v_mul_f64 v[60:61], v[60:61], s[24:25]
	v_fma_f64 v[153:154], v[52:53], s[18:19], v[18:19]
	v_fma_f64 v[155:156], v[56:57], s[10:11], v[106:107]
	v_fma_f64 v[18:19], v[52:53], s[18:19], -v[18:19]
	v_fma_f64 v[106:107], v[56:57], s[16:17], v[106:107]
	v_add_f64 v[36:37], v[90:91], v[36:37]
	v_add_f64 v[12:13], v[12:13], v[28:29]
	;; [unrolled: 1-line block ×18, first 2 shown]
	v_mul_f64 v[54:55], v[54:55], s[28:29]
	v_fma_f64 v[98:99], v[52:53], s[22:23], -v[98:99]
	v_add_f64 v[16:17], v[16:17], -v[28:29]
	v_mul_f64 v[28:29], v[66:67], s[24:25]
	v_fma_f64 v[100:101], v[56:57], s[20:21], v[100:101]
	v_add_f64 v[12:13], v[12:13], v[32:33]
	v_add_f64 v[14:15], v[14:15], v[34:35]
	;; [unrolled: 1-line block ×6, first 2 shown]
	v_fma_f64 v[148:149], v[52:53], s[36:37], v[102:103]
	v_fma_f64 v[102:103], v[52:53], s[36:37], -v[102:103]
	v_add_f64 v[76:77], v[140:141], v[122:123]
	v_add_f64 v[34:35], v[132:133], v[72:73]
	;; [unrolled: 1-line block ×8, first 2 shown]
	v_fma_f64 v[42:43], v[52:53], s[8:9], v[108:109]
	v_mul_f64 v[40:41], v[64:65], s[28:29]
	v_fma_f64 v[44:45], v[56:57], s[0:1], v[110:111]
	v_fma_f64 v[104:105], v[56:57], s[38:39], v[104:105]
	v_add_f64 v[78:79], v[94:95], v[78:79]
	v_add_f64 v[80:81], v[96:97], v[80:81]
	;; [unrolled: 1-line block ×3, first 2 shown]
	v_mul_f64 v[58:59], v[64:65], s[22:23]
	v_add_f64 v[14:15], v[14:15], v[68:69]
	v_fma_f64 v[68:69], v[52:53], s[8:9], -v[108:109]
	v_fma_f64 v[88:89], v[56:57], s[2:3], v[110:111]
	v_add_f64 v[46:47], v[150:151], v[48:49]
	v_mul_f64 v[48:49], v[66:67], s[26:27]
	v_add_f64 v[18:19], v[18:19], v[36:37]
	v_add_f64 v[36:37], v[106:107], v[38:39]
	v_fma_f64 v[38:39], v[52:53], s[28:29], -v[60:61]
	v_add_f64 v[72:73], v[136:137], v[118:119]
	v_fma_f64 v[90:91], v[52:53], s[28:29], v[60:61]
	v_mul_f64 v[60:61], v[66:67], s[2:3]
	v_add_f64 v[74:75], v[138:139], v[120:121]
	v_add_f64 v[30:31], v[98:99], v[30:31]
	v_fma_f64 v[92:93], v[56:57], s[34:35], v[54:55]
	v_fma_f64 v[52:53], v[56:57], s[24:25], v[54:55]
	;; [unrolled: 1-line block ×3, first 2 shown]
	v_add_f64 v[42:43], v[42:43], v[76:77]
	v_fma_f64 v[28:29], v[62:63], s[28:29], -v[28:29]
	v_mul_f64 v[76:77], v[64:65], s[8:9]
	v_add_f64 v[32:33], v[100:101], v[32:33]
	v_fma_f64 v[56:57], v[16:17], s[34:35], v[40:41]
	v_fma_f64 v[40:41], v[16:17], s[24:25], v[40:41]
	v_add_f64 v[34:35], v[148:149], v[34:35]
	v_add_f64 v[50:51], v[102:103], v[50:51]
	;; [unrolled: 1-line block ×3, first 2 shown]
	v_fma_f64 v[94:95], v[16:17], s[20:21], v[58:59]
	v_fma_f64 v[82:83], v[62:63], s[22:23], v[48:49]
	v_fma_f64 v[48:49], v[62:63], s[22:23], -v[48:49]
	v_add_f64 v[70:71], v[104:105], v[70:71]
	v_add_f64 v[68:69], v[68:69], v[78:79]
	v_fma_f64 v[58:59], v[16:17], s[26:27], v[58:59]
	v_add_f64 v[78:79], v[88:89], v[80:81]
	v_mul_f64 v[80:81], v[66:67], s[30:31]
	v_mul_f64 v[88:89], v[64:65], s[36:37]
	;; [unrolled: 1-line block ×4, first 2 shown]
	v_add_f64 v[0:1], v[38:39], v[0:1]
	v_add_f64 v[38:39], v[22:23], -v[26:27]
	v_add_f64 v[22:23], v[22:23], v[26:27]
	v_add_f64 v[84:85], v[144:145], v[126:127]
	;; [unrolled: 1-line block ×4, first 2 shown]
	v_fma_f64 v[26:27], v[62:63], s[8:9], v[60:61]
	v_add_f64 v[74:75], v[155:156], v[74:75]
	v_add_f64 v[28:29], v[28:29], v[30:31]
	v_fma_f64 v[30:31], v[16:17], s[0:1], v[76:77]
	v_add_f64 v[2:3], v[52:53], v[2:3]
	v_add_f64 v[52:53], v[40:41], v[32:33]
	v_fma_f64 v[40:41], v[62:63], s[8:9], -v[60:61]
	v_add_f64 v[32:33], v[82:83], v[34:35]
	v_add_f64 v[34:35], v[94:95], v[46:47]
	;; [unrolled: 1-line block ×3, first 2 shown]
	v_fma_f64 v[50:51], v[16:17], s[2:3], v[76:77]
	v_add_f64 v[8:9], v[54:55], v[8:9]
	v_add_f64 v[10:11], v[56:57], v[10:11]
	;; [unrolled: 1-line block ×3, first 2 shown]
	v_fma_f64 v[54:55], v[62:63], s[36:37], v[80:81]
	v_fma_f64 v[56:57], v[16:17], s[38:39], v[88:89]
	v_fma_f64 v[58:59], v[62:63], s[36:37], -v[80:81]
	v_fma_f64 v[60:61], v[16:17], s[30:31], v[88:89]
	v_fma_f64 v[70:71], v[62:63], s[18:19], v[66:67]
	;; [unrolled: 1-line block ×3, first 2 shown]
	v_fma_f64 v[62:63], v[62:63], s[18:19], -v[66:67]
	v_fma_f64 v[16:17], v[16:17], s[16:17], v[64:65]
	v_add_f64 v[64:65], v[20:21], v[24:25]
	v_add_f64 v[20:21], v[20:21], -v[24:25]
	v_mul_f64 v[24:25], v[38:39], s[30:31]
	v_mul_f64 v[66:67], v[22:23], s[36:37]
	v_add_f64 v[84:85], v[90:91], v[84:85]
	v_add_f64 v[86:87], v[92:93], v[86:87]
	;; [unrolled: 1-line block ×3, first 2 shown]
	v_mul_f64 v[72:73], v[38:39], s[0:1]
	v_mul_f64 v[80:81], v[22:23], s[8:9]
	v_add_f64 v[30:31], v[30:31], v[74:75]
	v_mul_f64 v[74:75], v[38:39], s[24:25]
	v_mul_f64 v[82:83], v[22:23], s[28:29]
	v_add_f64 v[18:19], v[40:41], v[18:19]
	;; [unrolled: 3-line block ×4, first 2 shown]
	v_add_f64 v[42:43], v[56:57], v[44:45]
	v_add_f64 v[44:45], v[58:59], v[68:69]
	;; [unrolled: 1-line block ×5, first 2 shown]
	v_fma_f64 v[16:17], v[64:65], s[36:37], v[24:25]
	v_fma_f64 v[68:69], v[20:21], s[38:39], v[66:67]
	v_add_f64 v[56:57], v[70:71], v[84:85]
	v_add_f64 v[58:59], v[76:77], v[86:87]
	v_fma_f64 v[24:25], v[64:65], s[36:37], -v[24:25]
	v_fma_f64 v[70:71], v[64:65], s[8:9], v[72:73]
	v_fma_f64 v[76:77], v[20:21], s[2:3], v[80:81]
	v_fma_f64 v[72:73], v[64:65], s[8:9], -v[72:73]
	v_fma_f64 v[78:79], v[64:65], s[28:29], v[74:75]
	v_fma_f64 v[84:85], v[20:21], s[34:35], v[82:83]
	;; [unrolled: 3-line block ×5, first 2 shown]
	v_fma_f64 v[82:83], v[20:21], s[24:25], v[82:83]
	v_fma_f64 v[80:81], v[20:21], s[0:1], v[80:81]
	v_fma_f64 v[66:67], v[20:21], s[30:31], v[66:67]
	v_add_f64 v[0:1], v[12:13], v[6:7]
	v_add_f64 v[2:3], v[14:15], v[4:5]
	;; [unrolled: 1-line block ×22, first 2 shown]
	ds_write_b128 v152, v[0:3]
	ds_write_b128 v152, v[4:7] offset:816
	ds_write_b128 v152, v[12:15] offset:1632
	;; [unrolled: 1-line block ×10, first 2 shown]
	s_waitcnt lgkmcnt(0)
	s_barrier
	buffer_gl0_inv
	s_clause 0x1
	buffer_load_dword v16, off, s[60:63], 0 offset:8
	buffer_load_dword v17, off, s[60:63], 0 offset:12
	s_and_b32 s0, exec_lo, vcc_lo
	s_mov_b32 exec_lo, s0
	s_cbranch_execz .LBB0_23
; %bb.22:
	buffer_load_dword v17, off, s[60:63], 0 ; 4-byte Folded Reload
	s_waitcnt vmcnt(2)
	v_mad_u64_u32 v[14:15], null, s6, v16, 0
	s_mov_b32 s0, 0x4bc01d34
	s_mov_b32 s1, 0x3f5d347a
	s_mul_i32 s2, s5, 0x210
	s_mul_i32 s3, s4, 0x210
	s_waitcnt vmcnt(0)
	v_lshlrev_b32_e32 v18, 4, v17
	global_load_dwordx4 v[0:3], v18, s[12:13]
	ds_read_b128 v[4:7], v152
	ds_read_b128 v[8:11], v152 offset:528
	s_waitcnt vmcnt(0) lgkmcnt(1)
	v_mul_f64 v[12:13], v[6:7], v[2:3]
	v_mul_f64 v[2:3], v[4:5], v[2:3]
	v_fma_f64 v[4:5], v[4:5], v[0:1], v[12:13]
	v_fma_f64 v[2:3], v[0:1], v[6:7], -v[2:3]
	v_mad_u64_u32 v[6:7], null, s4, v17, 0
	v_mov_b32_e32 v0, v15
	v_mov_b32_e32 v1, v7
	v_mad_u64_u32 v[12:13], null, s7, v16, v[0:1]
	v_mov_b32_e32 v15, v12
	v_mad_u64_u32 v[16:17], null, s5, v17, v[1:2]
	v_mul_f64 v[0:1], v[4:5], s[0:1]
	v_mul_f64 v[2:3], v[2:3], s[0:1]
	v_lshlrev_b64 v[4:5], 4, v[14:15]
	s_mul_hi_u32 s5, s4, 0x210
	s_add_i32 s2, s5, s2
	v_mov_b32_e32 v7, v16
	v_add_co_u32 v4, vcc_lo, s14, v4
	v_add_co_ci_u32_e32 v5, vcc_lo, s15, v5, vcc_lo
	v_lshlrev_b64 v[6:7], 4, v[6:7]
	v_add_co_u32 v4, vcc_lo, v4, v6
	v_add_co_ci_u32_e32 v5, vcc_lo, v5, v7, vcc_lo
	v_add_co_u32 v12, vcc_lo, v4, s3
	global_store_dwordx4 v[4:5], v[0:3], off
	global_load_dwordx4 v[0:3], v18, s[12:13] offset:528
	v_add_co_ci_u32_e32 v13, vcc_lo, s2, v5, vcc_lo
	s_waitcnt vmcnt(0) lgkmcnt(0)
	v_mul_f64 v[6:7], v[10:11], v[2:3]
	v_mul_f64 v[2:3], v[8:9], v[2:3]
	v_fma_f64 v[6:7], v[8:9], v[0:1], v[6:7]
	v_fma_f64 v[2:3], v[0:1], v[10:11], -v[2:3]
	v_mul_f64 v[0:1], v[6:7], s[0:1]
	v_mul_f64 v[2:3], v[2:3], s[0:1]
	global_store_dwordx4 v[12:13], v[0:3], off
	global_load_dwordx4 v[0:3], v18, s[12:13] offset:1056
	ds_read_b128 v[4:7], v152 offset:1056
	ds_read_b128 v[8:11], v152 offset:1584
	s_waitcnt vmcnt(0) lgkmcnt(1)
	v_mul_f64 v[14:15], v[6:7], v[2:3]
	v_mul_f64 v[2:3], v[4:5], v[2:3]
	v_fma_f64 v[4:5], v[4:5], v[0:1], v[14:15]
	v_fma_f64 v[2:3], v[0:1], v[6:7], -v[2:3]
	v_mul_f64 v[0:1], v[4:5], s[0:1]
	v_mul_f64 v[2:3], v[2:3], s[0:1]
	v_add_co_u32 v4, vcc_lo, v12, s3
	v_add_co_ci_u32_e32 v5, vcc_lo, s2, v13, vcc_lo
	v_add_co_u32 v12, vcc_lo, v4, s3
	v_add_co_ci_u32_e32 v13, vcc_lo, s2, v5, vcc_lo
	global_store_dwordx4 v[4:5], v[0:3], off
	global_load_dwordx4 v[0:3], v18, s[12:13] offset:1584
	v_add_co_u32 v18, s4, s12, v18
	v_add_co_ci_u32_e64 v19, null, s13, 0, s4
	v_add_co_u32 v14, vcc_lo, 0x800, v18
	v_add_co_ci_u32_e32 v15, vcc_lo, 0, v19, vcc_lo
	s_waitcnt vmcnt(0) lgkmcnt(0)
	v_mul_f64 v[6:7], v[10:11], v[2:3]
	v_mul_f64 v[2:3], v[8:9], v[2:3]
	v_fma_f64 v[6:7], v[8:9], v[0:1], v[6:7]
	v_fma_f64 v[2:3], v[0:1], v[10:11], -v[2:3]
	v_mul_f64 v[0:1], v[6:7], s[0:1]
	v_mul_f64 v[2:3], v[2:3], s[0:1]
	global_store_dwordx4 v[12:13], v[0:3], off
	global_load_dwordx4 v[0:3], v[14:15], off offset:64
	ds_read_b128 v[4:7], v152 offset:2112
	ds_read_b128 v[8:11], v152 offset:2640
	s_waitcnt vmcnt(0) lgkmcnt(1)
	v_mul_f64 v[16:17], v[6:7], v[2:3]
	v_mul_f64 v[2:3], v[4:5], v[2:3]
	v_fma_f64 v[4:5], v[4:5], v[0:1], v[16:17]
	v_fma_f64 v[2:3], v[0:1], v[6:7], -v[2:3]
	v_mul_f64 v[0:1], v[4:5], s[0:1]
	v_mul_f64 v[2:3], v[2:3], s[0:1]
	v_add_co_u32 v4, vcc_lo, v12, s3
	v_add_co_ci_u32_e32 v5, vcc_lo, s2, v13, vcc_lo
	v_add_co_u32 v12, vcc_lo, v4, s3
	v_add_co_ci_u32_e32 v13, vcc_lo, s2, v5, vcc_lo
	global_store_dwordx4 v[4:5], v[0:3], off
	global_load_dwordx4 v[0:3], v[14:15], off offset:592
	s_waitcnt vmcnt(0) lgkmcnt(0)
	v_mul_f64 v[6:7], v[10:11], v[2:3]
	v_mul_f64 v[2:3], v[8:9], v[2:3]
	v_fma_f64 v[6:7], v[8:9], v[0:1], v[6:7]
	v_fma_f64 v[2:3], v[0:1], v[10:11], -v[2:3]
	v_mul_f64 v[0:1], v[6:7], s[0:1]
	v_mul_f64 v[2:3], v[2:3], s[0:1]
	global_store_dwordx4 v[12:13], v[0:3], off
	global_load_dwordx4 v[0:3], v[14:15], off offset:1120
	ds_read_b128 v[4:7], v152 offset:3168
	ds_read_b128 v[8:11], v152 offset:3696
	s_waitcnt vmcnt(0) lgkmcnt(1)
	v_mul_f64 v[16:17], v[6:7], v[2:3]
	v_mul_f64 v[2:3], v[4:5], v[2:3]
	v_fma_f64 v[4:5], v[4:5], v[0:1], v[16:17]
	v_fma_f64 v[2:3], v[0:1], v[6:7], -v[2:3]
	v_mul_f64 v[0:1], v[4:5], s[0:1]
	v_mul_f64 v[2:3], v[2:3], s[0:1]
	v_add_co_u32 v4, vcc_lo, v12, s3
	v_add_co_ci_u32_e32 v5, vcc_lo, s2, v13, vcc_lo
	v_add_co_u32 v12, vcc_lo, v4, s3
	v_add_co_ci_u32_e32 v13, vcc_lo, s2, v5, vcc_lo
	global_store_dwordx4 v[4:5], v[0:3], off
	global_load_dwordx4 v[0:3], v[14:15], off offset:1648
	v_add_co_u32 v14, vcc_lo, 0x1000, v18
	v_add_co_ci_u32_e32 v15, vcc_lo, 0, v19, vcc_lo
	s_waitcnt vmcnt(0) lgkmcnt(0)
	v_mul_f64 v[6:7], v[10:11], v[2:3]
	v_mul_f64 v[2:3], v[8:9], v[2:3]
	v_fma_f64 v[6:7], v[8:9], v[0:1], v[6:7]
	v_fma_f64 v[2:3], v[0:1], v[10:11], -v[2:3]
	v_mul_f64 v[0:1], v[6:7], s[0:1]
	v_mul_f64 v[2:3], v[2:3], s[0:1]
	global_store_dwordx4 v[12:13], v[0:3], off
	global_load_dwordx4 v[0:3], v[14:15], off offset:128
	ds_read_b128 v[4:7], v152 offset:4224
	ds_read_b128 v[8:11], v152 offset:4752
	s_waitcnt vmcnt(0) lgkmcnt(1)
	v_mul_f64 v[16:17], v[6:7], v[2:3]
	v_mul_f64 v[2:3], v[4:5], v[2:3]
	v_fma_f64 v[4:5], v[4:5], v[0:1], v[16:17]
	v_fma_f64 v[2:3], v[0:1], v[6:7], -v[2:3]
	v_mul_f64 v[0:1], v[4:5], s[0:1]
	v_mul_f64 v[2:3], v[2:3], s[0:1]
	v_add_co_u32 v4, vcc_lo, v12, s3
	v_add_co_ci_u32_e32 v5, vcc_lo, s2, v13, vcc_lo
	v_add_co_u32 v12, vcc_lo, v4, s3
	v_add_co_ci_u32_e32 v13, vcc_lo, s2, v5, vcc_lo
	global_store_dwordx4 v[4:5], v[0:3], off
	global_load_dwordx4 v[0:3], v[14:15], off offset:656
	s_waitcnt vmcnt(0) lgkmcnt(0)
	v_mul_f64 v[6:7], v[10:11], v[2:3]
	v_mul_f64 v[2:3], v[8:9], v[2:3]
	v_fma_f64 v[6:7], v[8:9], v[0:1], v[6:7]
	v_fma_f64 v[2:3], v[0:1], v[10:11], -v[2:3]
	v_mul_f64 v[0:1], v[6:7], s[0:1]
	v_mul_f64 v[2:3], v[2:3], s[0:1]
	global_store_dwordx4 v[12:13], v[0:3], off
	global_load_dwordx4 v[0:3], v[14:15], off offset:1184
	ds_read_b128 v[4:7], v152 offset:5280
	ds_read_b128 v[8:11], v152 offset:5808
	s_waitcnt vmcnt(0) lgkmcnt(1)
	v_mul_f64 v[16:17], v[6:7], v[2:3]
	v_mul_f64 v[2:3], v[4:5], v[2:3]
	v_fma_f64 v[4:5], v[4:5], v[0:1], v[16:17]
	v_fma_f64 v[2:3], v[0:1], v[6:7], -v[2:3]
	v_mul_f64 v[0:1], v[4:5], s[0:1]
	v_mul_f64 v[2:3], v[2:3], s[0:1]
	v_add_co_u32 v4, vcc_lo, v12, s3
	v_add_co_ci_u32_e32 v5, vcc_lo, s2, v13, vcc_lo
	v_add_co_u32 v12, vcc_lo, v4, s3
	v_add_co_ci_u32_e32 v13, vcc_lo, s2, v5, vcc_lo
	global_store_dwordx4 v[4:5], v[0:3], off
	global_load_dwordx4 v[0:3], v[14:15], off offset:1712
	v_add_co_u32 v14, vcc_lo, 0x1800, v18
	v_add_co_ci_u32_e32 v15, vcc_lo, 0, v19, vcc_lo
	s_waitcnt vmcnt(0) lgkmcnt(0)
	v_mul_f64 v[6:7], v[10:11], v[2:3]
	v_mul_f64 v[2:3], v[8:9], v[2:3]
	v_fma_f64 v[6:7], v[8:9], v[0:1], v[6:7]
	v_fma_f64 v[2:3], v[0:1], v[10:11], -v[2:3]
	v_mul_f64 v[0:1], v[6:7], s[0:1]
	v_mul_f64 v[2:3], v[2:3], s[0:1]
	global_store_dwordx4 v[12:13], v[0:3], off
	global_load_dwordx4 v[0:3], v[14:15], off offset:192
	ds_read_b128 v[4:7], v152 offset:6336
	ds_read_b128 v[8:11], v152 offset:6864
	s_waitcnt vmcnt(0) lgkmcnt(1)
	v_mul_f64 v[16:17], v[6:7], v[2:3]
	v_mul_f64 v[2:3], v[4:5], v[2:3]
	v_fma_f64 v[4:5], v[4:5], v[0:1], v[16:17]
	v_fma_f64 v[2:3], v[0:1], v[6:7], -v[2:3]
	v_mul_f64 v[0:1], v[4:5], s[0:1]
	v_mul_f64 v[2:3], v[2:3], s[0:1]
	v_add_co_u32 v4, vcc_lo, v12, s3
	v_add_co_ci_u32_e32 v5, vcc_lo, s2, v13, vcc_lo
	v_add_co_u32 v12, vcc_lo, v4, s3
	v_add_co_ci_u32_e32 v13, vcc_lo, s2, v5, vcc_lo
	global_store_dwordx4 v[4:5], v[0:3], off
	global_load_dwordx4 v[0:3], v[14:15], off offset:720
	s_waitcnt vmcnt(0) lgkmcnt(0)
	v_mul_f64 v[6:7], v[10:11], v[2:3]
	v_mul_f64 v[2:3], v[8:9], v[2:3]
	v_fma_f64 v[6:7], v[8:9], v[0:1], v[6:7]
	v_fma_f64 v[2:3], v[0:1], v[10:11], -v[2:3]
	v_mul_f64 v[0:1], v[6:7], s[0:1]
	v_mul_f64 v[2:3], v[2:3], s[0:1]
	global_store_dwordx4 v[12:13], v[0:3], off
	global_load_dwordx4 v[0:3], v[14:15], off offset:1248
	ds_read_b128 v[4:7], v152 offset:7392
	ds_read_b128 v[8:11], v152 offset:7920
	s_waitcnt vmcnt(0) lgkmcnt(1)
	v_mul_f64 v[16:17], v[6:7], v[2:3]
	v_mul_f64 v[2:3], v[4:5], v[2:3]
	v_fma_f64 v[4:5], v[4:5], v[0:1], v[16:17]
	v_fma_f64 v[2:3], v[0:1], v[6:7], -v[2:3]
	v_mul_f64 v[0:1], v[4:5], s[0:1]
	v_mul_f64 v[2:3], v[2:3], s[0:1]
	v_add_co_u32 v4, vcc_lo, v12, s3
	v_add_co_ci_u32_e32 v5, vcc_lo, s2, v13, vcc_lo
	global_store_dwordx4 v[4:5], v[0:3], off
	global_load_dwordx4 v[0:3], v[14:15], off offset:1776
	s_waitcnt vmcnt(0) lgkmcnt(0)
	v_mul_f64 v[6:7], v[10:11], v[2:3]
	v_mul_f64 v[2:3], v[8:9], v[2:3]
	v_fma_f64 v[6:7], v[8:9], v[0:1], v[6:7]
	v_fma_f64 v[2:3], v[0:1], v[10:11], -v[2:3]
	v_add_co_u32 v8, vcc_lo, v4, s3
	v_add_co_ci_u32_e32 v9, vcc_lo, s2, v5, vcc_lo
	v_add_co_u32 v4, vcc_lo, 0x2000, v18
	v_add_co_ci_u32_e32 v5, vcc_lo, 0, v19, vcc_lo
	v_mul_f64 v[0:1], v[6:7], s[0:1]
	v_mul_f64 v[2:3], v[2:3], s[0:1]
	global_store_dwordx4 v[8:9], v[0:3], off
	global_load_dwordx4 v[0:3], v[4:5], off offset:256
	ds_read_b128 v[4:7], v152 offset:8448
	s_waitcnt vmcnt(0) lgkmcnt(0)
	v_mul_f64 v[10:11], v[6:7], v[2:3]
	v_mul_f64 v[2:3], v[4:5], v[2:3]
	v_fma_f64 v[4:5], v[4:5], v[0:1], v[10:11]
	v_fma_f64 v[2:3], v[0:1], v[6:7], -v[2:3]
	v_mul_f64 v[0:1], v[4:5], s[0:1]
	v_mul_f64 v[2:3], v[2:3], s[0:1]
	v_add_co_u32 v4, vcc_lo, v8, s3
	v_add_co_ci_u32_e32 v5, vcc_lo, s2, v9, vcc_lo
	global_store_dwordx4 v[4:5], v[0:3], off
.LBB0_23:
	s_endpgm
	.section	.rodata,"a",@progbits
	.p2align	6, 0x0
	.amdhsa_kernel bluestein_single_fwd_len561_dim1_dp_op_CI_CI
		.amdhsa_group_segment_fixed_size 44880
		.amdhsa_private_segment_fixed_size 600
		.amdhsa_kernarg_size 104
		.amdhsa_user_sgpr_count 6
		.amdhsa_user_sgpr_private_segment_buffer 1
		.amdhsa_user_sgpr_dispatch_ptr 0
		.amdhsa_user_sgpr_queue_ptr 0
		.amdhsa_user_sgpr_kernarg_segment_ptr 1
		.amdhsa_user_sgpr_dispatch_id 0
		.amdhsa_user_sgpr_flat_scratch_init 0
		.amdhsa_user_sgpr_private_segment_size 0
		.amdhsa_wavefront_size32 1
		.amdhsa_uses_dynamic_stack 0
		.amdhsa_system_sgpr_private_segment_wavefront_offset 1
		.amdhsa_system_sgpr_workgroup_id_x 1
		.amdhsa_system_sgpr_workgroup_id_y 0
		.amdhsa_system_sgpr_workgroup_id_z 0
		.amdhsa_system_sgpr_workgroup_info 0
		.amdhsa_system_vgpr_workitem_id 0
		.amdhsa_next_free_vgpr 256
		.amdhsa_next_free_sgpr 64
		.amdhsa_reserve_vcc 1
		.amdhsa_reserve_flat_scratch 0
		.amdhsa_float_round_mode_32 0
		.amdhsa_float_round_mode_16_64 0
		.amdhsa_float_denorm_mode_32 3
		.amdhsa_float_denorm_mode_16_64 3
		.amdhsa_dx10_clamp 1
		.amdhsa_ieee_mode 1
		.amdhsa_fp16_overflow 0
		.amdhsa_workgroup_processor_mode 1
		.amdhsa_memory_ordered 1
		.amdhsa_forward_progress 0
		.amdhsa_shared_vgpr_count 0
		.amdhsa_exception_fp_ieee_invalid_op 0
		.amdhsa_exception_fp_denorm_src 0
		.amdhsa_exception_fp_ieee_div_zero 0
		.amdhsa_exception_fp_ieee_overflow 0
		.amdhsa_exception_fp_ieee_underflow 0
		.amdhsa_exception_fp_ieee_inexact 0
		.amdhsa_exception_int_div_zero 0
	.end_amdhsa_kernel
	.text
.Lfunc_end0:
	.size	bluestein_single_fwd_len561_dim1_dp_op_CI_CI, .Lfunc_end0-bluestein_single_fwd_len561_dim1_dp_op_CI_CI
                                        ; -- End function
	.section	.AMDGPU.csdata,"",@progbits
; Kernel info:
; codeLenInByte = 31964
; NumSgprs: 66
; NumVgprs: 256
; ScratchSize: 600
; MemoryBound: 0
; FloatMode: 240
; IeeeMode: 1
; LDSByteSize: 44880 bytes/workgroup (compile time only)
; SGPRBlocks: 8
; VGPRBlocks: 31
; NumSGPRsForWavesPerEU: 66
; NumVGPRsForWavesPerEU: 256
; Occupancy: 4
; WaveLimiterHint : 1
; COMPUTE_PGM_RSRC2:SCRATCH_EN: 1
; COMPUTE_PGM_RSRC2:USER_SGPR: 6
; COMPUTE_PGM_RSRC2:TRAP_HANDLER: 0
; COMPUTE_PGM_RSRC2:TGID_X_EN: 1
; COMPUTE_PGM_RSRC2:TGID_Y_EN: 0
; COMPUTE_PGM_RSRC2:TGID_Z_EN: 0
; COMPUTE_PGM_RSRC2:TIDIG_COMP_CNT: 0
	.text
	.p2alignl 6, 3214868480
	.fill 48, 4, 3214868480
	.type	__hip_cuid_66a70393af671a4,@object ; @__hip_cuid_66a70393af671a4
	.section	.bss,"aw",@nobits
	.globl	__hip_cuid_66a70393af671a4
__hip_cuid_66a70393af671a4:
	.byte	0                               ; 0x0
	.size	__hip_cuid_66a70393af671a4, 1

	.ident	"AMD clang version 19.0.0git (https://github.com/RadeonOpenCompute/llvm-project roc-6.4.0 25133 c7fe45cf4b819c5991fe208aaa96edf142730f1d)"
	.section	".note.GNU-stack","",@progbits
	.addrsig
	.addrsig_sym __hip_cuid_66a70393af671a4
	.amdgpu_metadata
---
amdhsa.kernels:
  - .args:
      - .actual_access:  read_only
        .address_space:  global
        .offset:         0
        .size:           8
        .value_kind:     global_buffer
      - .actual_access:  read_only
        .address_space:  global
        .offset:         8
        .size:           8
        .value_kind:     global_buffer
      - .actual_access:  read_only
        .address_space:  global
        .offset:         16
        .size:           8
        .value_kind:     global_buffer
      - .actual_access:  read_only
        .address_space:  global
        .offset:         24
        .size:           8
        .value_kind:     global_buffer
      - .actual_access:  read_only
        .address_space:  global
        .offset:         32
        .size:           8
        .value_kind:     global_buffer
      - .offset:         40
        .size:           8
        .value_kind:     by_value
      - .address_space:  global
        .offset:         48
        .size:           8
        .value_kind:     global_buffer
      - .address_space:  global
        .offset:         56
        .size:           8
        .value_kind:     global_buffer
      - .address_space:  global
        .offset:         64
        .size:           8
        .value_kind:     global_buffer
      - .address_space:  global
        .offset:         72
        .size:           8
        .value_kind:     global_buffer
      - .offset:         80
        .size:           4
        .value_kind:     by_value
      - .address_space:  global
        .offset:         88
        .size:           8
        .value_kind:     global_buffer
      - .address_space:  global
        .offset:         96
        .size:           8
        .value_kind:     global_buffer
    .group_segment_fixed_size: 44880
    .kernarg_segment_align: 8
    .kernarg_segment_size: 104
    .language:       OpenCL C
    .language_version:
      - 2
      - 0
    .max_flat_workgroup_size: 255
    .name:           bluestein_single_fwd_len561_dim1_dp_op_CI_CI
    .private_segment_fixed_size: 600
    .sgpr_count:     66
    .sgpr_spill_count: 0
    .symbol:         bluestein_single_fwd_len561_dim1_dp_op_CI_CI.kd
    .uniform_work_group_size: 1
    .uses_dynamic_stack: false
    .vgpr_count:     256
    .vgpr_spill_count: 212
    .wavefront_size: 32
    .workgroup_processor_mode: 1
amdhsa.target:   amdgcn-amd-amdhsa--gfx1030
amdhsa.version:
  - 1
  - 2
...

	.end_amdgpu_metadata
